;; amdgpu-corpus repo=ROCm/rocBLAS kind=compiled arch=gfx906 opt=O3
	.amdgcn_target "amdgcn-amd-amdhsa--gfx906"
	.amdhsa_code_object_version 6
	.section	.text._ZL19rocblas_hpr2_kernelILi64ELi16ELi2EPK19rocblas_complex_numIfES3_PS1_EvbiT2_T3_lllS6_lllT4_lli,"axG",@progbits,_ZL19rocblas_hpr2_kernelILi64ELi16ELi2EPK19rocblas_complex_numIfES3_PS1_EvbiT2_T3_lllS6_lllT4_lli,comdat
	.globl	_ZL19rocblas_hpr2_kernelILi64ELi16ELi2EPK19rocblas_complex_numIfES3_PS1_EvbiT2_T3_lllS6_lllT4_lli ; -- Begin function _ZL19rocblas_hpr2_kernelILi64ELi16ELi2EPK19rocblas_complex_numIfES3_PS1_EvbiT2_T3_lllS6_lllT4_lli
	.p2align	8
	.type	_ZL19rocblas_hpr2_kernelILi64ELi16ELi2EPK19rocblas_complex_numIfES3_PS1_EvbiT2_T3_lllS6_lllT4_lli,@function
_ZL19rocblas_hpr2_kernelILi64ELi16ELi2EPK19rocblas_complex_numIfES3_PS1_EvbiT2_T3_lllS6_lllT4_lli: ; @_ZL19rocblas_hpr2_kernelILi64ELi16ELi2EPK19rocblas_complex_numIfES3_PS1_EvbiT2_T3_lllS6_lllT4_lli
; %bb.0:
	s_load_dwordx16 s[12:27], s[4:5], 0x8
	s_waitcnt lgkmcnt(0)
	s_load_dwordx2 s[10:11], s[12:13], 0x0
	s_waitcnt lgkmcnt(0)
	v_cmp_neq_f32_e64 s[0:1], s10, 0
	v_cmp_neq_f32_e64 s[2:3], s11, 0
	s_or_b64 s[0:1], s[0:1], s[2:3]
	s_andn2_b64 vcc, exec, s[0:1]
	s_cbranch_vccnz .LBB0_23
; %bb.1:
	s_load_dwordx2 s[12:13], s[4:5], 0x0
	s_mov_b64 s[0:1], -1
	v_lshl_add_u32 v7, s6, 7, v0
	v_lshl_add_u32 v2, s7, 4, v1
                                        ; implicit-def: $vgpr0
	s_waitcnt lgkmcnt(0)
	s_bitcmp1_b32 s12, 0
	s_cselect_b64 s[2:3], -1, 0
	s_xor_b64 s[28:29], s[2:3], -1
	s_and_b64 vcc, exec, s[28:29]
	s_cbranch_vccz .LBB0_3
; %bb.2:
	s_lshl_b32 s0, s13, 1
	v_sub_u32_e32 v0, s0, v2
	v_mad_u64_u32 v[0:1], s[0:1], v2, v0, v[2:3]
	v_sub_u32_e32 v1, v7, v2
	s_mov_b64 s[0:1], 0
	v_lshrrev_b32_e32 v3, 31, v0
	v_add_u32_e32 v0, v0, v3
	v_ashrrev_i32_e32 v0, 1, v0
	v_add_u32_e32 v0, v1, v0
.LBB0_3:
	s_andn2_b64 vcc, exec, s[0:1]
	s_cbranch_vccnz .LBB0_5
; %bb.4:
	v_mad_u64_u32 v[0:1], s[0:1], v2, v2, v[2:3]
	v_lshrrev_b32_e32 v1, 31, v0
	v_add_u32_e32 v0, v0, v1
	v_ashrrev_i32_e32 v0, 1, v0
	v_add_u32_e32 v0, v0, v7
.LBB0_5:
	s_mul_i32 s0, s21, s8
	s_mul_hi_u32 s1, s20, s8
	s_load_dwordx8 s[36:43], s[4:5], 0x48
	s_add_i32 s1, s1, s0
	s_mul_i32 s0, s20, s8
	s_lshl_b64 s[0:1], s[0:1], 3
	s_add_u32 s2, s14, s0
	s_addc_u32 s3, s15, s1
	s_lshl_b64 s[0:1], s[16:17], 3
	s_add_u32 s12, s2, s0
	s_addc_u32 s16, s3, s1
	s_waitcnt lgkmcnt(0)
	s_mul_i32 s0, s37, s8
	s_mul_hi_u32 s1, s36, s8
	s_add_i32 s1, s1, s0
	s_mul_i32 s0, s36, s8
	s_lshl_b64 s[0:1], s[0:1], 3
	s_add_u32 s2, s22, s0
	s_addc_u32 s3, s23, s1
	s_lshl_b64 s[0:1], s[24:25], 3
	s_add_u32 s14, s2, s0
	s_addc_u32 s15, s3, s1
	s_mul_i32 s0, s43, s8
	s_mul_hi_u32 s1, s42, s8
	s_add_i32 s1, s1, s0
	s_mul_i32 s0, s42, s8
	s_lshl_b64 s[0:1], s[0:1], 3
	s_add_u32 s2, s38, s0
	s_addc_u32 s3, s39, s1
	s_lshl_b64 s[0:1], s[40:41], 3
	s_add_u32 s8, s2, s0
	v_ashrrev_i32_e32 v1, 31, v2
	s_addc_u32 s9, s3, s1
	v_mul_lo_u32 v8, s27, v2
	v_mul_lo_u32 v9, s26, v1
	v_mad_u64_u32 v[3:4], s[2:3], s26, v2, 0
	v_mul_lo_u32 v10, s19, v2
	v_mul_lo_u32 v1, s18, v1
	v_mad_u64_u32 v[5:6], s[2:3], s18, v2, 0
	v_add3_u32 v4, v4, v9, v8
	v_lshlrev_b64 v[3:4], 3, v[3:4]
	v_add3_u32 v6, v6, v1, v10
	v_lshlrev_b64 v[5:6], 3, v[5:6]
	v_cmp_gt_i32_e64 s[0:1], s13, v2
	v_mov_b32_e32 v8, s15
	v_mov_b32_e32 v1, s16
	s_and_b64 vcc, exec, s[28:29]
	s_cbranch_vccz .LBB0_7
; %bb.6:
	v_cmp_le_i32_e32 vcc, s13, v7
	v_cmp_le_i32_e64 s[2:3], v7, v2
	s_or_b64 s[6:7], s[2:3], vcc
	s_mov_b64 s[2:3], 0
	s_mov_b64 s[4:5], -1
	s_and_b64 s[6:7], s[6:7], exec
	s_branch .LBB0_8
.LBB0_7:
	s_mov_b64 s[2:3], -1
	s_mov_b64 s[6:7], 0
	s_mov_b64 s[4:5], 0
.LBB0_8:
	v_add_co_u32_e32 v3, vcc, s14, v3
	v_addc_co_u32_e32 v4, vcc, v8, v4, vcc
	s_andn2_b64 vcc, exec, s[2:3]
	v_add_co_u32_e64 v5, s[2:3], s12, v5
	v_addc_co_u32_e64 v6, s[2:3], v1, v6, s[2:3]
	s_cbranch_vccz .LBB0_14
; %bb.9:
	s_and_saveexec_b64 s[2:3], s[6:7]
	s_xor_b64 s[6:7], exec, s[2:3]
	s_cbranch_execnz .LBB0_15
.LBB0_10:
	s_or_b64 exec, exec, s[6:7]
	v_ashrrev_i32_e32 v1, 31, v0
	s_and_saveexec_b64 s[2:3], s[4:5]
	s_cbranch_execz .LBB0_12
.LBB0_11:
	v_ashrrev_i32_e32 v10, 31, v7
	v_mul_lo_u32 v11, s19, v7
	v_mad_u64_u32 v[8:9], s[4:5], s18, v7, 0
	v_mul_lo_u32 v12, s18, v10
	v_mul_lo_u32 v13, s27, v7
	;; [unrolled: 1-line block ×3, first 2 shown]
	v_mov_b32_e32 v16, s9
	v_add3_u32 v9, v9, v12, v11
	v_mad_u64_u32 v[10:11], s[4:5], s26, v7, 0
	v_lshlrev_b64 v[8:9], 3, v[8:9]
	v_mov_b32_e32 v12, s16
	v_add3_u32 v11, v11, v14, v13
	v_add_co_u32_e32 v8, vcc, s12, v8
	v_lshlrev_b64 v[10:11], 3, v[10:11]
	v_addc_co_u32_e32 v9, vcc, v12, v9, vcc
	global_load_dwordx2 v[8:9], v[8:9], off
	v_mov_b32_e32 v12, s15
	v_add_co_u32_e32 v10, vcc, s14, v10
	v_addc_co_u32_e32 v11, vcc, v12, v11, vcc
	global_load_dwordx2 v[12:13], v[10:11], off
	global_load_dwordx2 v[14:15], v[3:4], off
	v_lshlrev_b64 v[10:11], 3, v[0:1]
	v_add_co_u32_e32 v10, vcc, s8, v10
	v_addc_co_u32_e32 v11, vcc, v16, v11, vcc
	global_load_dwordx2 v[16:17], v[5:6], off
	s_waitcnt vmcnt(3)
	v_mul_f32_e32 v18, s11, v9
	v_mul_f32_e32 v19, s10, v9
	v_fma_f32 v18, s10, v8, -v18
	v_fmac_f32_e32 v19, s11, v8
	s_waitcnt vmcnt(2)
	v_mul_f32_e32 v20, s11, v13
	v_mul_f32_e32 v8, s11, v12
	v_fmac_f32_e32 v20, s10, v12
	v_fma_f32 v12, s10, v13, -v8
	global_load_dwordx2 v[8:9], v[10:11], off
	s_waitcnt vmcnt(2)
	v_mul_f32_e32 v13, v15, v19
	v_mul_f32_e32 v15, v15, v18
	v_fmac_f32_e32 v13, v14, v18
	v_fma_f32 v14, v14, v19, -v15
	s_waitcnt vmcnt(1)
	v_mul_f32_e32 v15, v17, v12
	v_mul_f32_e32 v17, v17, v20
	v_fmac_f32_e32 v15, v16, v20
	v_fma_f32 v12, v16, v12, -v17
	v_add_f32_e32 v13, v13, v15
	v_add_f32_e32 v12, v14, v12
	s_waitcnt vmcnt(0)
	v_add_f32_e32 v8, v8, v13
	v_add_f32_e32 v9, v9, v12
	global_store_dwordx2 v[10:11], v[8:9], off
.LBB0_12:
	s_or_b64 exec, exec, s[2:3]
	v_add_u32_e32 v7, 64, v7
	s_andn2_b64 vcc, exec, s[28:29]
	v_cmp_gt_i32_e64 s[2:3], s13, v7
	s_cbranch_vccnz .LBB0_18
; %bb.13:
	v_cmp_lt_i32_e32 vcc, v2, v7
	s_and_b64 s[2:3], s[2:3], vcc
	s_xor_b64 s[6:7], s[2:3], -1
	s_and_b64 s[2:3], s[2:3], exec
	s_and_b64 s[6:7], s[6:7], exec
	s_cbranch_execz .LBB0_19
	s_branch .LBB0_20
.LBB0_14:
	v_cmp_lt_i32_e32 vcc, v7, v2
	s_and_b64 s[2:3], vcc, s[0:1]
	s_xor_b64 s[20:21], s[2:3], -1
	s_andn2_b64 s[4:5], s[4:5], exec
	s_and_b64 s[2:3], s[2:3], exec
	s_or_b64 s[4:5], s[4:5], s[2:3]
	s_andn2_b64 s[2:3], s[6:7], exec
	s_and_b64 s[6:7], s[20:21], exec
	s_or_b64 s[6:7], s[2:3], s[6:7]
	s_and_saveexec_b64 s[2:3], s[6:7]
	s_xor_b64 s[6:7], exec, s[2:3]
	s_cbranch_execz .LBB0_10
.LBB0_15:
	v_cmp_eq_u32_e32 vcc, v7, v2
	v_cmp_gt_i32_e64 s[2:3], s13, v7
	s_and_b64 s[20:21], vcc, s[2:3]
	s_and_saveexec_b64 s[2:3], s[20:21]
	s_cbranch_execz .LBB0_17
; %bb.16:
	v_ashrrev_i32_e32 v1, 31, v7
	v_mul_lo_u32 v10, s19, v7
	v_mad_u64_u32 v[8:9], s[20:21], s18, v7, 0
	v_mul_lo_u32 v11, s18, v1
	v_mul_lo_u32 v13, s27, v7
	v_mul_lo_u32 v1, s26, v1
	v_mov_b32_e32 v12, s16
	v_add3_u32 v9, v9, v11, v10
	v_mad_u64_u32 v[10:11], s[20:21], s26, v7, 0
	v_lshlrev_b64 v[8:9], 3, v[8:9]
	global_load_dwordx2 v[16:17], v[5:6], off
	v_add3_u32 v11, v11, v1, v13
	v_add_co_u32_e32 v8, vcc, s12, v8
	v_lshlrev_b64 v[10:11], 3, v[10:11]
	v_addc_co_u32_e32 v9, vcc, v12, v9, vcc
	v_mov_b32_e32 v1, s15
	v_add_co_u32_e32 v10, vcc, s14, v10
	v_addc_co_u32_e32 v11, vcc, v1, v11, vcc
	v_ashrrev_i32_e32 v1, 31, v0
	global_load_dwordx2 v[8:9], v[8:9], off
	v_lshlrev_b64 v[14:15], 3, v[0:1]
	global_load_dwordx2 v[10:11], v[10:11], off
	v_mov_b32_e32 v1, s9
	global_load_dwordx2 v[12:13], v[3:4], off
	v_add_co_u32_e32 v14, vcc, s8, v14
	v_addc_co_u32_e32 v15, vcc, v1, v15, vcc
	global_load_dword v1, v[14:15], off
	s_waitcnt vmcnt(3)
	v_mul_f32_e32 v18, s11, v9
	v_mul_f32_e32 v9, s10, v9
	v_fma_f32 v18, s10, v8, -v18
	v_fmac_f32_e32 v9, s11, v8
	s_waitcnt vmcnt(2)
	v_mul_f32_e32 v8, s11, v11
	v_mul_f32_e32 v19, s11, v10
	v_fmac_f32_e32 v8, s10, v10
	v_fma_f32 v10, s10, v11, -v19
	s_waitcnt vmcnt(1)
	v_mul_f32_e32 v11, v13, v9
	v_mul_f32_e32 v13, v13, v18
	v_fmac_f32_e32 v11, v12, v18
	v_mul_f32_e32 v18, v17, v10
	v_fma_f32 v9, v12, v9, -v13
	v_mul_f32_e32 v12, v17, v8
	v_fmac_f32_e32 v18, v16, v8
	v_fma_f32 v10, v16, v10, -v12
	s_waitcnt vmcnt(0)
	v_add_f32_e32 v1, v1, v11
	v_add_f32_e32 v8, v1, v18
	;; [unrolled: 1-line block ×3, first 2 shown]
	global_store_dwordx2 v[14:15], v[8:9], off
.LBB0_17:
	s_or_b64 exec, exec, s[2:3]
	s_andn2_b64 s[4:5], s[4:5], exec
	s_or_b64 exec, exec, s[6:7]
	v_ashrrev_i32_e32 v1, 31, v0
	s_and_saveexec_b64 s[2:3], s[4:5]
	s_cbranch_execnz .LBB0_11
	s_branch .LBB0_12
.LBB0_18:
	s_mov_b64 s[6:7], 0
	s_mov_b64 s[2:3], 0
.LBB0_19:
	v_cmp_ge_i32_e32 vcc, v7, v2
	s_xor_b64 s[0:1], s[0:1], -1
	s_or_b64 s[0:1], s[0:1], vcc
	s_andn2_b64 s[4:5], s[6:7], exec
	s_and_b64 s[0:1], s[0:1], exec
	s_or_b64 s[2:3], s[2:3], exec
	s_or_b64 s[6:7], s[4:5], s[0:1]
.LBB0_20:
	s_and_saveexec_b64 s[4:5], s[6:7]
	s_cbranch_execnz .LBB0_24
; %bb.21:
	s_or_b64 exec, exec, s[4:5]
	s_and_saveexec_b64 s[0:1], s[2:3]
	s_cbranch_execz .LBB0_23
.LBB0_22:
	v_ashrrev_i32_e32 v2, 31, v7
	v_mul_lo_u32 v10, s19, v7
	v_mad_u64_u32 v[8:9], s[0:1], s18, v7, 0
	v_mul_lo_u32 v11, s18, v2
	v_mul_lo_u32 v13, s27, v7
	;; [unrolled: 1-line block ×3, first 2 shown]
	v_mov_b32_e32 v12, s16
	v_add3_u32 v9, v9, v11, v10
	v_mad_u64_u32 v[10:11], s[0:1], s26, v7, 0
	v_lshlrev_b64 v[8:9], 3, v[8:9]
	v_lshlrev_b64 v[0:1], 3, v[0:1]
	v_add_co_u32_e32 v7, vcc, s12, v8
	v_add3_u32 v11, v11, v2, v13
	v_addc_co_u32_e32 v8, vcc, v12, v9, vcc
	v_lshlrev_b64 v[9:10], 3, v[10:11]
	global_load_dwordx2 v[7:8], v[7:8], off
	v_mov_b32_e32 v2, s15
	v_add_co_u32_e32 v9, vcc, s14, v9
	v_addc_co_u32_e32 v10, vcc, v2, v10, vcc
	global_load_dwordx2 v[11:12], v[9:10], off
	global_load_dwordx2 v[13:14], v[3:4], off
	;; [unrolled: 1-line block ×3, first 2 shown]
	v_mov_b32_e32 v2, s9
	v_add_co_u32_e32 v0, vcc, s8, v0
	v_addc_co_u32_e32 v1, vcc, v2, v1, vcc
	global_load_dwordx2 v[2:3], v[0:1], off offset:512
	s_waitcnt vmcnt(4)
	v_mul_f32_e32 v4, s11, v8
	v_mul_f32_e32 v5, s10, v8
	v_fma_f32 v4, s10, v7, -v4
	v_fmac_f32_e32 v5, s11, v7
	s_waitcnt vmcnt(3)
	v_mul_f32_e32 v6, s11, v12
	v_mul_f32_e32 v8, s11, v11
	v_fmac_f32_e32 v6, s10, v11
	v_fma_f32 v7, s10, v12, -v8
	s_waitcnt vmcnt(2)
	v_mul_f32_e32 v8, v14, v5
	v_mul_f32_e32 v9, v14, v4
	s_waitcnt vmcnt(1)
	v_mul_f32_e32 v10, v16, v7
	v_mul_f32_e32 v11, v16, v6
	v_fmac_f32_e32 v8, v13, v4
	v_fma_f32 v4, v13, v5, -v9
	v_fmac_f32_e32 v10, v15, v6
	v_fma_f32 v5, v15, v7, -v11
	v_add_f32_e32 v6, v8, v10
	v_add_f32_e32 v4, v4, v5
	s_waitcnt vmcnt(0)
	v_add_f32_e32 v2, v2, v6
	v_add_f32_e32 v3, v3, v4
	global_store_dwordx2 v[0:1], v[2:3], off offset:512
.LBB0_23:
	s_endpgm
.LBB0_24:
	v_cmp_eq_u32_e32 vcc, v7, v2
	v_cmp_gt_i32_e64 s[0:1], s13, v7
	s_and_b64 s[6:7], vcc, s[0:1]
	s_and_saveexec_b64 s[0:1], s[6:7]
	s_cbranch_execz .LBB0_26
; %bb.25:
	v_lshlrev_b64 v[12:13], 3, v[0:1]
	global_load_dwordx2 v[8:9], v[5:6], off
	global_load_dwordx2 v[10:11], v[3:4], off
	v_mov_b32_e32 v2, s9
	v_add_co_u32_e32 v12, vcc, s8, v12
	v_addc_co_u32_e32 v13, vcc, v2, v13, vcc
	global_load_dword v2, v[12:13], off offset:512
	s_waitcnt vmcnt(2)
	v_mul_f32_e32 v15, s10, v9
	v_mul_f32_e32 v14, s11, v9
	s_waitcnt vmcnt(1)
	v_mul_f32_e32 v16, s11, v11
	v_mul_f32_e32 v17, s11, v10
	v_fmac_f32_e32 v15, s11, v8
	v_fma_f32 v14, s10, v8, -v14
	v_fmac_f32_e32 v16, s10, v10
	v_fma_f32 v17, s10, v11, -v17
	v_mul_f32_e32 v18, v11, v15
	v_mul_f32_e32 v11, v11, v14
	;; [unrolled: 1-line block ×3, first 2 shown]
	v_fmac_f32_e32 v18, v10, v14
	v_mul_f32_e32 v9, v9, v16
	v_fma_f32 v10, v10, v15, -v11
	v_fmac_f32_e32 v19, v8, v16
	v_fma_f32 v9, v8, v17, -v9
	s_waitcnt vmcnt(0)
	v_add_f32_e32 v2, v2, v18
	v_add_f32_e32 v8, v2, v19
	;; [unrolled: 1-line block ×3, first 2 shown]
	global_store_dwordx2 v[12:13], v[8:9], off offset:512
.LBB0_26:
	s_or_b64 exec, exec, s[0:1]
	s_andn2_b64 s[2:3], s[2:3], exec
	s_or_b64 exec, exec, s[4:5]
	s_and_saveexec_b64 s[0:1], s[2:3]
	s_cbranch_execnz .LBB0_22
	s_branch .LBB0_23
	.section	.rodata,"a",@progbits
	.p2align	6, 0x0
	.amdhsa_kernel _ZL19rocblas_hpr2_kernelILi64ELi16ELi2EPK19rocblas_complex_numIfES3_PS1_EvbiT2_T3_lllS6_lllT4_lli
		.amdhsa_group_segment_fixed_size 0
		.amdhsa_private_segment_fixed_size 0
		.amdhsa_kernarg_size 108
		.amdhsa_user_sgpr_count 6
		.amdhsa_user_sgpr_private_segment_buffer 1
		.amdhsa_user_sgpr_dispatch_ptr 0
		.amdhsa_user_sgpr_queue_ptr 0
		.amdhsa_user_sgpr_kernarg_segment_ptr 1
		.amdhsa_user_sgpr_dispatch_id 0
		.amdhsa_user_sgpr_flat_scratch_init 0
		.amdhsa_user_sgpr_private_segment_size 0
		.amdhsa_uses_dynamic_stack 0
		.amdhsa_system_sgpr_private_segment_wavefront_offset 0
		.amdhsa_system_sgpr_workgroup_id_x 1
		.amdhsa_system_sgpr_workgroup_id_y 1
		.amdhsa_system_sgpr_workgroup_id_z 1
		.amdhsa_system_sgpr_workgroup_info 0
		.amdhsa_system_vgpr_workitem_id 1
		.amdhsa_next_free_vgpr 21
		.amdhsa_next_free_sgpr 44
		.amdhsa_reserve_vcc 1
		.amdhsa_reserve_flat_scratch 0
		.amdhsa_float_round_mode_32 0
		.amdhsa_float_round_mode_16_64 0
		.amdhsa_float_denorm_mode_32 3
		.amdhsa_float_denorm_mode_16_64 3
		.amdhsa_dx10_clamp 1
		.amdhsa_ieee_mode 1
		.amdhsa_fp16_overflow 0
		.amdhsa_exception_fp_ieee_invalid_op 0
		.amdhsa_exception_fp_denorm_src 0
		.amdhsa_exception_fp_ieee_div_zero 0
		.amdhsa_exception_fp_ieee_overflow 0
		.amdhsa_exception_fp_ieee_underflow 0
		.amdhsa_exception_fp_ieee_inexact 0
		.amdhsa_exception_int_div_zero 0
	.end_amdhsa_kernel
	.section	.text._ZL19rocblas_hpr2_kernelILi64ELi16ELi2EPK19rocblas_complex_numIfES3_PS1_EvbiT2_T3_lllS6_lllT4_lli,"axG",@progbits,_ZL19rocblas_hpr2_kernelILi64ELi16ELi2EPK19rocblas_complex_numIfES3_PS1_EvbiT2_T3_lllS6_lllT4_lli,comdat
.Lfunc_end0:
	.size	_ZL19rocblas_hpr2_kernelILi64ELi16ELi2EPK19rocblas_complex_numIfES3_PS1_EvbiT2_T3_lllS6_lllT4_lli, .Lfunc_end0-_ZL19rocblas_hpr2_kernelILi64ELi16ELi2EPK19rocblas_complex_numIfES3_PS1_EvbiT2_T3_lllS6_lllT4_lli
                                        ; -- End function
	.set _ZL19rocblas_hpr2_kernelILi64ELi16ELi2EPK19rocblas_complex_numIfES3_PS1_EvbiT2_T3_lllS6_lllT4_lli.num_vgpr, 21
	.set _ZL19rocblas_hpr2_kernelILi64ELi16ELi2EPK19rocblas_complex_numIfES3_PS1_EvbiT2_T3_lllS6_lllT4_lli.num_agpr, 0
	.set _ZL19rocblas_hpr2_kernelILi64ELi16ELi2EPK19rocblas_complex_numIfES3_PS1_EvbiT2_T3_lllS6_lllT4_lli.numbered_sgpr, 44
	.set _ZL19rocblas_hpr2_kernelILi64ELi16ELi2EPK19rocblas_complex_numIfES3_PS1_EvbiT2_T3_lllS6_lllT4_lli.num_named_barrier, 0
	.set _ZL19rocblas_hpr2_kernelILi64ELi16ELi2EPK19rocblas_complex_numIfES3_PS1_EvbiT2_T3_lllS6_lllT4_lli.private_seg_size, 0
	.set _ZL19rocblas_hpr2_kernelILi64ELi16ELi2EPK19rocblas_complex_numIfES3_PS1_EvbiT2_T3_lllS6_lllT4_lli.uses_vcc, 1
	.set _ZL19rocblas_hpr2_kernelILi64ELi16ELi2EPK19rocblas_complex_numIfES3_PS1_EvbiT2_T3_lllS6_lllT4_lli.uses_flat_scratch, 0
	.set _ZL19rocblas_hpr2_kernelILi64ELi16ELi2EPK19rocblas_complex_numIfES3_PS1_EvbiT2_T3_lllS6_lllT4_lli.has_dyn_sized_stack, 0
	.set _ZL19rocblas_hpr2_kernelILi64ELi16ELi2EPK19rocblas_complex_numIfES3_PS1_EvbiT2_T3_lllS6_lllT4_lli.has_recursion, 0
	.set _ZL19rocblas_hpr2_kernelILi64ELi16ELi2EPK19rocblas_complex_numIfES3_PS1_EvbiT2_T3_lllS6_lllT4_lli.has_indirect_call, 0
	.section	.AMDGPU.csdata,"",@progbits
; Kernel info:
; codeLenInByte = 1808
; TotalNumSgprs: 48
; NumVgprs: 21
; ScratchSize: 0
; MemoryBound: 0
; FloatMode: 240
; IeeeMode: 1
; LDSByteSize: 0 bytes/workgroup (compile time only)
; SGPRBlocks: 5
; VGPRBlocks: 5
; NumSGPRsForWavesPerEU: 48
; NumVGPRsForWavesPerEU: 21
; Occupancy: 10
; WaveLimiterHint : 0
; COMPUTE_PGM_RSRC2:SCRATCH_EN: 0
; COMPUTE_PGM_RSRC2:USER_SGPR: 6
; COMPUTE_PGM_RSRC2:TRAP_HANDLER: 0
; COMPUTE_PGM_RSRC2:TGID_X_EN: 1
; COMPUTE_PGM_RSRC2:TGID_Y_EN: 1
; COMPUTE_PGM_RSRC2:TGID_Z_EN: 1
; COMPUTE_PGM_RSRC2:TIDIG_COMP_CNT: 1
	.section	.text._ZL19rocblas_hpr2_kernelILi64ELi16ELi2E19rocblas_complex_numIfEPKS1_PS1_EvbiT2_T3_lllS6_lllT4_lli,"axG",@progbits,_ZL19rocblas_hpr2_kernelILi64ELi16ELi2E19rocblas_complex_numIfEPKS1_PS1_EvbiT2_T3_lllS6_lllT4_lli,comdat
	.globl	_ZL19rocblas_hpr2_kernelILi64ELi16ELi2E19rocblas_complex_numIfEPKS1_PS1_EvbiT2_T3_lllS6_lllT4_lli ; -- Begin function _ZL19rocblas_hpr2_kernelILi64ELi16ELi2E19rocblas_complex_numIfEPKS1_PS1_EvbiT2_T3_lllS6_lllT4_lli
	.p2align	8
	.type	_ZL19rocblas_hpr2_kernelILi64ELi16ELi2E19rocblas_complex_numIfEPKS1_PS1_EvbiT2_T3_lllS6_lllT4_lli,@function
_ZL19rocblas_hpr2_kernelILi64ELi16ELi2E19rocblas_complex_numIfEPKS1_PS1_EvbiT2_T3_lllS6_lllT4_lli: ; @_ZL19rocblas_hpr2_kernelILi64ELi16ELi2E19rocblas_complex_numIfEPKS1_PS1_EvbiT2_T3_lllS6_lllT4_lli
; %bb.0:
	s_load_dwordx4 s[28:31], s[4:5], 0x0
	s_waitcnt lgkmcnt(0)
	v_cmp_neq_f32_e64 s[0:1], s30, 0
	v_cmp_neq_f32_e64 s[2:3], s31, 0
	s_or_b64 s[0:1], s[0:1], s[2:3]
	s_andn2_b64 vcc, exec, s[0:1]
	s_cbranch_vccnz .LBB1_23
; %bb.1:
	s_bitcmp1_b32 s28, 0
	s_cselect_b64 s[2:3], -1, 0
	s_xor_b64 s[10:11], s[2:3], -1
	s_mov_b64 s[0:1], -1
	v_lshl_add_u32 v7, s6, 7, v0
	v_lshl_add_u32 v2, s7, 4, v1
	s_and_b64 vcc, exec, s[10:11]
                                        ; implicit-def: $vgpr0
	s_cbranch_vccz .LBB1_3
; %bb.2:
	s_lshl_b32 s0, s29, 1
	v_sub_u32_e32 v0, s0, v2
	v_mad_u64_u32 v[0:1], s[0:1], v2, v0, v[2:3]
	v_sub_u32_e32 v1, v7, v2
	s_mov_b64 s[0:1], 0
	v_lshrrev_b32_e32 v3, 31, v0
	v_add_u32_e32 v0, v0, v3
	v_ashrrev_i32_e32 v0, 1, v0
	v_add_u32_e32 v0, v1, v0
.LBB1_3:
	s_andn2_b64 vcc, exec, s[0:1]
	s_cbranch_vccnz .LBB1_5
; %bb.4:
	v_mad_u64_u32 v[0:1], s[0:1], v2, v2, v[2:3]
	v_lshrrev_b32_e32 v1, 31, v0
	v_add_u32_e32 v0, v0, v1
	v_ashrrev_i32_e32 v0, 1, v0
	v_add_u32_e32 v0, v0, v7
.LBB1_5:
	s_load_dwordx16 s[12:27], s[4:5], 0x10
	s_load_dwordx2 s[6:7], s[4:5], 0x60
	s_load_dwordx4 s[0:3], s[4:5], 0x50
	v_ashrrev_i32_e32 v1, 31, v2
	s_waitcnt lgkmcnt(0)
	s_mul_i32 s5, s19, s8
	s_mul_hi_u32 s9, s18, s8
	s_mul_i32 s4, s18, s8
	s_add_i32 s5, s9, s5
	s_lshl_b64 s[4:5], s[4:5], 3
	s_add_u32 s9, s12, s4
	s_addc_u32 s13, s13, s5
	s_lshl_b64 s[4:5], s[14:15], 3
	s_add_u32 s12, s9, s4
	s_addc_u32 s15, s13, s5
	s_mul_i32 s4, s27, s8
	s_mul_hi_u32 s5, s26, s8
	s_add_i32 s5, s5, s4
	s_mul_i32 s4, s26, s8
	s_lshl_b64 s[4:5], s[4:5], 3
	s_add_u32 s9, s20, s4
	s_addc_u32 s14, s21, s5
	s_lshl_b64 s[4:5], s[22:23], 3
	s_add_u32 s13, s9, s4
	s_addc_u32 s14, s14, s5
	s_mul_i32 s4, s7, s8
	s_mul_hi_u32 s5, s6, s8
	s_add_i32 s5, s5, s4
	s_mul_i32 s4, s6, s8
	s_lshl_b64 s[4:5], s[4:5], 3
	s_add_u32 s4, s0, s4
	s_addc_u32 s5, s1, s5
	s_lshl_b64 s[0:1], s[2:3], 3
	v_mul_lo_u32 v8, s25, v2
	v_mul_lo_u32 v9, s24, v1
	v_mad_u64_u32 v[3:4], s[2:3], s24, v2, 0
	v_mul_lo_u32 v10, s17, v2
	v_mul_lo_u32 v1, s16, v1
	v_mad_u64_u32 v[5:6], s[2:3], s16, v2, 0
	v_add3_u32 v4, v4, v9, v8
	s_add_u32 s8, s4, s0
	v_add3_u32 v6, v6, v1, v10
	v_lshlrev_b64 v[3:4], 3, v[3:4]
	v_lshlrev_b64 v[5:6], 3, v[5:6]
	s_addc_u32 s9, s5, s1
	v_cmp_gt_i32_e64 s[0:1], s29, v2
	v_mov_b32_e32 v8, s14
	v_mov_b32_e32 v1, s15
	s_and_b64 vcc, exec, s[10:11]
	s_cbranch_vccz .LBB1_7
; %bb.6:
	v_cmp_le_i32_e32 vcc, s29, v7
	v_cmp_le_i32_e64 s[2:3], v7, v2
	s_or_b64 s[6:7], s[2:3], vcc
	s_mov_b64 s[2:3], 0
	s_mov_b64 s[4:5], -1
	s_and_b64 s[6:7], s[6:7], exec
	s_branch .LBB1_8
.LBB1_7:
	s_mov_b64 s[2:3], -1
	s_mov_b64 s[6:7], 0
	s_mov_b64 s[4:5], 0
.LBB1_8:
	v_add_co_u32_e32 v3, vcc, s13, v3
	v_addc_co_u32_e32 v4, vcc, v8, v4, vcc
	s_andn2_b64 vcc, exec, s[2:3]
	v_add_co_u32_e64 v5, s[2:3], s12, v5
	v_addc_co_u32_e64 v6, s[2:3], v1, v6, s[2:3]
	s_cbranch_vccz .LBB1_14
; %bb.9:
	s_and_saveexec_b64 s[2:3], s[6:7]
	s_xor_b64 s[6:7], exec, s[2:3]
	s_cbranch_execnz .LBB1_15
.LBB1_10:
	s_or_b64 exec, exec, s[6:7]
	v_ashrrev_i32_e32 v1, 31, v0
	s_and_saveexec_b64 s[2:3], s[4:5]
	s_cbranch_execz .LBB1_12
.LBB1_11:
	v_ashrrev_i32_e32 v10, 31, v7
	v_mul_lo_u32 v11, s17, v7
	v_mad_u64_u32 v[8:9], s[4:5], s16, v7, 0
	v_mul_lo_u32 v12, s16, v10
	v_mul_lo_u32 v13, s25, v7
	;; [unrolled: 1-line block ×3, first 2 shown]
	v_mov_b32_e32 v16, s9
	v_add3_u32 v9, v9, v12, v11
	v_mad_u64_u32 v[10:11], s[4:5], s24, v7, 0
	v_lshlrev_b64 v[8:9], 3, v[8:9]
	v_mov_b32_e32 v12, s15
	v_add3_u32 v11, v11, v14, v13
	v_add_co_u32_e32 v8, vcc, s12, v8
	v_lshlrev_b64 v[10:11], 3, v[10:11]
	v_addc_co_u32_e32 v9, vcc, v12, v9, vcc
	global_load_dwordx2 v[8:9], v[8:9], off
	v_mov_b32_e32 v12, s14
	v_add_co_u32_e32 v10, vcc, s13, v10
	v_addc_co_u32_e32 v11, vcc, v12, v11, vcc
	global_load_dwordx2 v[12:13], v[10:11], off
	global_load_dwordx2 v[14:15], v[3:4], off
	v_lshlrev_b64 v[10:11], 3, v[0:1]
	v_add_co_u32_e32 v10, vcc, s8, v10
	v_addc_co_u32_e32 v11, vcc, v16, v11, vcc
	global_load_dwordx2 v[16:17], v[5:6], off
	s_waitcnt vmcnt(3)
	v_mul_f32_e32 v18, s31, v9
	v_mul_f32_e32 v19, s30, v9
	v_fma_f32 v18, s30, v8, -v18
	v_fmac_f32_e32 v19, s31, v8
	s_waitcnt vmcnt(2)
	v_mul_f32_e32 v20, s31, v13
	v_mul_f32_e32 v8, s31, v12
	v_fmac_f32_e32 v20, s30, v12
	v_fma_f32 v12, s30, v13, -v8
	global_load_dwordx2 v[8:9], v[10:11], off
	s_waitcnt vmcnt(2)
	v_mul_f32_e32 v13, v15, v19
	v_mul_f32_e32 v15, v15, v18
	v_fmac_f32_e32 v13, v14, v18
	v_fma_f32 v14, v14, v19, -v15
	s_waitcnt vmcnt(1)
	v_mul_f32_e32 v15, v17, v12
	v_mul_f32_e32 v17, v17, v20
	v_fmac_f32_e32 v15, v16, v20
	v_fma_f32 v12, v16, v12, -v17
	v_add_f32_e32 v13, v13, v15
	v_add_f32_e32 v12, v14, v12
	s_waitcnt vmcnt(0)
	v_add_f32_e32 v8, v8, v13
	v_add_f32_e32 v9, v9, v12
	global_store_dwordx2 v[10:11], v[8:9], off
.LBB1_12:
	s_or_b64 exec, exec, s[2:3]
	v_add_u32_e32 v7, 64, v7
	s_andn2_b64 vcc, exec, s[10:11]
	v_cmp_gt_i32_e64 s[2:3], s29, v7
	s_cbranch_vccnz .LBB1_18
; %bb.13:
	v_cmp_lt_i32_e32 vcc, v2, v7
	s_and_b64 s[2:3], s[2:3], vcc
	s_xor_b64 s[6:7], s[2:3], -1
	s_and_b64 s[2:3], s[2:3], exec
	s_and_b64 s[6:7], s[6:7], exec
	s_cbranch_execz .LBB1_19
	s_branch .LBB1_20
.LBB1_14:
	v_cmp_lt_i32_e32 vcc, v7, v2
	s_and_b64 s[2:3], vcc, s[0:1]
	s_xor_b64 s[18:19], s[2:3], -1
	s_andn2_b64 s[4:5], s[4:5], exec
	s_and_b64 s[2:3], s[2:3], exec
	s_or_b64 s[4:5], s[4:5], s[2:3]
	s_andn2_b64 s[2:3], s[6:7], exec
	s_and_b64 s[6:7], s[18:19], exec
	s_or_b64 s[6:7], s[2:3], s[6:7]
	s_and_saveexec_b64 s[2:3], s[6:7]
	s_xor_b64 s[6:7], exec, s[2:3]
	s_cbranch_execz .LBB1_10
.LBB1_15:
	v_cmp_eq_u32_e32 vcc, v7, v2
	v_cmp_gt_i32_e64 s[2:3], s29, v7
	s_and_b64 s[18:19], vcc, s[2:3]
	s_and_saveexec_b64 s[2:3], s[18:19]
	s_cbranch_execz .LBB1_17
; %bb.16:
	v_ashrrev_i32_e32 v1, 31, v7
	v_mul_lo_u32 v10, s17, v7
	v_mad_u64_u32 v[8:9], s[18:19], s16, v7, 0
	v_mul_lo_u32 v11, s16, v1
	v_mul_lo_u32 v13, s25, v7
	;; [unrolled: 1-line block ×3, first 2 shown]
	v_mov_b32_e32 v12, s15
	v_add3_u32 v9, v9, v11, v10
	v_mad_u64_u32 v[10:11], s[18:19], s24, v7, 0
	v_lshlrev_b64 v[8:9], 3, v[8:9]
	global_load_dwordx2 v[16:17], v[5:6], off
	v_add3_u32 v11, v11, v1, v13
	v_add_co_u32_e32 v8, vcc, s12, v8
	v_lshlrev_b64 v[10:11], 3, v[10:11]
	v_addc_co_u32_e32 v9, vcc, v12, v9, vcc
	v_mov_b32_e32 v1, s14
	v_add_co_u32_e32 v10, vcc, s13, v10
	v_addc_co_u32_e32 v11, vcc, v1, v11, vcc
	v_ashrrev_i32_e32 v1, 31, v0
	global_load_dwordx2 v[8:9], v[8:9], off
	v_lshlrev_b64 v[14:15], 3, v[0:1]
	global_load_dwordx2 v[10:11], v[10:11], off
	v_mov_b32_e32 v1, s9
	global_load_dwordx2 v[12:13], v[3:4], off
	v_add_co_u32_e32 v14, vcc, s8, v14
	v_addc_co_u32_e32 v15, vcc, v1, v15, vcc
	global_load_dword v1, v[14:15], off
	s_waitcnt vmcnt(3)
	v_mul_f32_e32 v18, s31, v9
	v_mul_f32_e32 v9, s30, v9
	v_fma_f32 v18, s30, v8, -v18
	v_fmac_f32_e32 v9, s31, v8
	s_waitcnt vmcnt(2)
	v_mul_f32_e32 v8, s31, v11
	v_mul_f32_e32 v19, s31, v10
	v_fmac_f32_e32 v8, s30, v10
	v_fma_f32 v10, s30, v11, -v19
	s_waitcnt vmcnt(1)
	v_mul_f32_e32 v11, v13, v9
	v_mul_f32_e32 v13, v13, v18
	v_fmac_f32_e32 v11, v12, v18
	v_mul_f32_e32 v18, v17, v10
	v_fma_f32 v9, v12, v9, -v13
	v_mul_f32_e32 v12, v17, v8
	v_fmac_f32_e32 v18, v16, v8
	v_fma_f32 v10, v16, v10, -v12
	s_waitcnt vmcnt(0)
	v_add_f32_e32 v1, v1, v11
	v_add_f32_e32 v8, v1, v18
	;; [unrolled: 1-line block ×3, first 2 shown]
	global_store_dwordx2 v[14:15], v[8:9], off
.LBB1_17:
	s_or_b64 exec, exec, s[2:3]
	s_andn2_b64 s[4:5], s[4:5], exec
	s_or_b64 exec, exec, s[6:7]
	v_ashrrev_i32_e32 v1, 31, v0
	s_and_saveexec_b64 s[2:3], s[4:5]
	s_cbranch_execnz .LBB1_11
	s_branch .LBB1_12
.LBB1_18:
	s_mov_b64 s[6:7], 0
	s_mov_b64 s[2:3], 0
.LBB1_19:
	v_cmp_ge_i32_e32 vcc, v7, v2
	s_xor_b64 s[0:1], s[0:1], -1
	s_or_b64 s[0:1], s[0:1], vcc
	s_andn2_b64 s[4:5], s[6:7], exec
	s_and_b64 s[0:1], s[0:1], exec
	s_or_b64 s[2:3], s[2:3], exec
	s_or_b64 s[6:7], s[4:5], s[0:1]
.LBB1_20:
	s_and_saveexec_b64 s[4:5], s[6:7]
	s_cbranch_execnz .LBB1_24
; %bb.21:
	s_or_b64 exec, exec, s[4:5]
	s_and_saveexec_b64 s[0:1], s[2:3]
	s_cbranch_execz .LBB1_23
.LBB1_22:
	v_ashrrev_i32_e32 v2, 31, v7
	v_mul_lo_u32 v10, s17, v7
	v_mad_u64_u32 v[8:9], s[0:1], s16, v7, 0
	v_mul_lo_u32 v11, s16, v2
	v_mul_lo_u32 v13, s25, v7
	v_mul_lo_u32 v2, s24, v2
	v_mov_b32_e32 v12, s15
	v_add3_u32 v9, v9, v11, v10
	v_mad_u64_u32 v[10:11], s[0:1], s24, v7, 0
	v_lshlrev_b64 v[8:9], 3, v[8:9]
	v_lshlrev_b64 v[0:1], 3, v[0:1]
	v_add_co_u32_e32 v7, vcc, s12, v8
	v_add3_u32 v11, v11, v2, v13
	v_addc_co_u32_e32 v8, vcc, v12, v9, vcc
	v_lshlrev_b64 v[9:10], 3, v[10:11]
	global_load_dwordx2 v[7:8], v[7:8], off
	v_mov_b32_e32 v2, s14
	v_add_co_u32_e32 v9, vcc, s13, v9
	v_addc_co_u32_e32 v10, vcc, v2, v10, vcc
	global_load_dwordx2 v[11:12], v[9:10], off
	global_load_dwordx2 v[13:14], v[3:4], off
	;; [unrolled: 1-line block ×3, first 2 shown]
	v_mov_b32_e32 v2, s9
	v_add_co_u32_e32 v0, vcc, s8, v0
	v_addc_co_u32_e32 v1, vcc, v2, v1, vcc
	global_load_dwordx2 v[2:3], v[0:1], off offset:512
	s_waitcnt vmcnt(4)
	v_mul_f32_e32 v4, s31, v8
	v_mul_f32_e32 v5, s30, v8
	v_fma_f32 v4, s30, v7, -v4
	v_fmac_f32_e32 v5, s31, v7
	s_waitcnt vmcnt(3)
	v_mul_f32_e32 v6, s31, v12
	v_mul_f32_e32 v8, s31, v11
	v_fmac_f32_e32 v6, s30, v11
	v_fma_f32 v7, s30, v12, -v8
	s_waitcnt vmcnt(2)
	v_mul_f32_e32 v8, v14, v5
	v_mul_f32_e32 v9, v14, v4
	s_waitcnt vmcnt(1)
	v_mul_f32_e32 v10, v16, v7
	v_mul_f32_e32 v11, v16, v6
	v_fmac_f32_e32 v8, v13, v4
	v_fma_f32 v4, v13, v5, -v9
	v_fmac_f32_e32 v10, v15, v6
	v_fma_f32 v5, v15, v7, -v11
	v_add_f32_e32 v6, v8, v10
	v_add_f32_e32 v4, v4, v5
	s_waitcnt vmcnt(0)
	v_add_f32_e32 v2, v2, v6
	v_add_f32_e32 v3, v3, v4
	global_store_dwordx2 v[0:1], v[2:3], off offset:512
.LBB1_23:
	s_endpgm
.LBB1_24:
	v_cmp_eq_u32_e32 vcc, v7, v2
	v_cmp_gt_i32_e64 s[0:1], s29, v7
	s_and_b64 s[6:7], vcc, s[0:1]
	s_and_saveexec_b64 s[0:1], s[6:7]
	s_cbranch_execz .LBB1_26
; %bb.25:
	v_lshlrev_b64 v[12:13], 3, v[0:1]
	global_load_dwordx2 v[8:9], v[5:6], off
	global_load_dwordx2 v[10:11], v[3:4], off
	v_mov_b32_e32 v2, s9
	v_add_co_u32_e32 v12, vcc, s8, v12
	v_addc_co_u32_e32 v13, vcc, v2, v13, vcc
	global_load_dword v2, v[12:13], off offset:512
	s_waitcnt vmcnt(2)
	v_mul_f32_e32 v15, s30, v9
	v_mul_f32_e32 v14, s31, v9
	s_waitcnt vmcnt(1)
	v_mul_f32_e32 v16, s31, v11
	v_mul_f32_e32 v17, s31, v10
	v_fmac_f32_e32 v15, s31, v8
	v_fma_f32 v14, s30, v8, -v14
	v_fmac_f32_e32 v16, s30, v10
	v_fma_f32 v17, s30, v11, -v17
	v_mul_f32_e32 v18, v11, v15
	v_mul_f32_e32 v11, v11, v14
	;; [unrolled: 1-line block ×3, first 2 shown]
	v_fmac_f32_e32 v18, v10, v14
	v_mul_f32_e32 v9, v9, v16
	v_fma_f32 v10, v10, v15, -v11
	v_fmac_f32_e32 v19, v8, v16
	v_fma_f32 v9, v8, v17, -v9
	s_waitcnt vmcnt(0)
	v_add_f32_e32 v2, v2, v18
	v_add_f32_e32 v8, v2, v19
	;; [unrolled: 1-line block ×3, first 2 shown]
	global_store_dwordx2 v[12:13], v[8:9], off offset:512
.LBB1_26:
	s_or_b64 exec, exec, s[0:1]
	s_andn2_b64 s[2:3], s[2:3], exec
	s_or_b64 exec, exec, s[4:5]
	s_and_saveexec_b64 s[0:1], s[2:3]
	s_cbranch_execnz .LBB1_22
	s_branch .LBB1_23
	.section	.rodata,"a",@progbits
	.p2align	6, 0x0
	.amdhsa_kernel _ZL19rocblas_hpr2_kernelILi64ELi16ELi2E19rocblas_complex_numIfEPKS1_PS1_EvbiT2_T3_lllS6_lllT4_lli
		.amdhsa_group_segment_fixed_size 0
		.amdhsa_private_segment_fixed_size 0
		.amdhsa_kernarg_size 108
		.amdhsa_user_sgpr_count 6
		.amdhsa_user_sgpr_private_segment_buffer 1
		.amdhsa_user_sgpr_dispatch_ptr 0
		.amdhsa_user_sgpr_queue_ptr 0
		.amdhsa_user_sgpr_kernarg_segment_ptr 1
		.amdhsa_user_sgpr_dispatch_id 0
		.amdhsa_user_sgpr_flat_scratch_init 0
		.amdhsa_user_sgpr_private_segment_size 0
		.amdhsa_uses_dynamic_stack 0
		.amdhsa_system_sgpr_private_segment_wavefront_offset 0
		.amdhsa_system_sgpr_workgroup_id_x 1
		.amdhsa_system_sgpr_workgroup_id_y 1
		.amdhsa_system_sgpr_workgroup_id_z 1
		.amdhsa_system_sgpr_workgroup_info 0
		.amdhsa_system_vgpr_workitem_id 1
		.amdhsa_next_free_vgpr 21
		.amdhsa_next_free_sgpr 32
		.amdhsa_reserve_vcc 1
		.amdhsa_reserve_flat_scratch 0
		.amdhsa_float_round_mode_32 0
		.amdhsa_float_round_mode_16_64 0
		.amdhsa_float_denorm_mode_32 3
		.amdhsa_float_denorm_mode_16_64 3
		.amdhsa_dx10_clamp 1
		.amdhsa_ieee_mode 1
		.amdhsa_fp16_overflow 0
		.amdhsa_exception_fp_ieee_invalid_op 0
		.amdhsa_exception_fp_denorm_src 0
		.amdhsa_exception_fp_ieee_div_zero 0
		.amdhsa_exception_fp_ieee_overflow 0
		.amdhsa_exception_fp_ieee_underflow 0
		.amdhsa_exception_fp_ieee_inexact 0
		.amdhsa_exception_int_div_zero 0
	.end_amdhsa_kernel
	.section	.text._ZL19rocblas_hpr2_kernelILi64ELi16ELi2E19rocblas_complex_numIfEPKS1_PS1_EvbiT2_T3_lllS6_lllT4_lli,"axG",@progbits,_ZL19rocblas_hpr2_kernelILi64ELi16ELi2E19rocblas_complex_numIfEPKS1_PS1_EvbiT2_T3_lllS6_lllT4_lli,comdat
.Lfunc_end1:
	.size	_ZL19rocblas_hpr2_kernelILi64ELi16ELi2E19rocblas_complex_numIfEPKS1_PS1_EvbiT2_T3_lllS6_lllT4_lli, .Lfunc_end1-_ZL19rocblas_hpr2_kernelILi64ELi16ELi2E19rocblas_complex_numIfEPKS1_PS1_EvbiT2_T3_lllS6_lllT4_lli
                                        ; -- End function
	.set _ZL19rocblas_hpr2_kernelILi64ELi16ELi2E19rocblas_complex_numIfEPKS1_PS1_EvbiT2_T3_lllS6_lllT4_lli.num_vgpr, 21
	.set _ZL19rocblas_hpr2_kernelILi64ELi16ELi2E19rocblas_complex_numIfEPKS1_PS1_EvbiT2_T3_lllS6_lllT4_lli.num_agpr, 0
	.set _ZL19rocblas_hpr2_kernelILi64ELi16ELi2E19rocblas_complex_numIfEPKS1_PS1_EvbiT2_T3_lllS6_lllT4_lli.numbered_sgpr, 32
	.set _ZL19rocblas_hpr2_kernelILi64ELi16ELi2E19rocblas_complex_numIfEPKS1_PS1_EvbiT2_T3_lllS6_lllT4_lli.num_named_barrier, 0
	.set _ZL19rocblas_hpr2_kernelILi64ELi16ELi2E19rocblas_complex_numIfEPKS1_PS1_EvbiT2_T3_lllS6_lllT4_lli.private_seg_size, 0
	.set _ZL19rocblas_hpr2_kernelILi64ELi16ELi2E19rocblas_complex_numIfEPKS1_PS1_EvbiT2_T3_lllS6_lllT4_lli.uses_vcc, 1
	.set _ZL19rocblas_hpr2_kernelILi64ELi16ELi2E19rocblas_complex_numIfEPKS1_PS1_EvbiT2_T3_lllS6_lllT4_lli.uses_flat_scratch, 0
	.set _ZL19rocblas_hpr2_kernelILi64ELi16ELi2E19rocblas_complex_numIfEPKS1_PS1_EvbiT2_T3_lllS6_lllT4_lli.has_dyn_sized_stack, 0
	.set _ZL19rocblas_hpr2_kernelILi64ELi16ELi2E19rocblas_complex_numIfEPKS1_PS1_EvbiT2_T3_lllS6_lllT4_lli.has_recursion, 0
	.set _ZL19rocblas_hpr2_kernelILi64ELi16ELi2E19rocblas_complex_numIfEPKS1_PS1_EvbiT2_T3_lllS6_lllT4_lli.has_indirect_call, 0
	.section	.AMDGPU.csdata,"",@progbits
; Kernel info:
; codeLenInByte = 1800
; TotalNumSgprs: 36
; NumVgprs: 21
; ScratchSize: 0
; MemoryBound: 0
; FloatMode: 240
; IeeeMode: 1
; LDSByteSize: 0 bytes/workgroup (compile time only)
; SGPRBlocks: 4
; VGPRBlocks: 5
; NumSGPRsForWavesPerEU: 36
; NumVGPRsForWavesPerEU: 21
; Occupancy: 10
; WaveLimiterHint : 0
; COMPUTE_PGM_RSRC2:SCRATCH_EN: 0
; COMPUTE_PGM_RSRC2:USER_SGPR: 6
; COMPUTE_PGM_RSRC2:TRAP_HANDLER: 0
; COMPUTE_PGM_RSRC2:TGID_X_EN: 1
; COMPUTE_PGM_RSRC2:TGID_Y_EN: 1
; COMPUTE_PGM_RSRC2:TGID_Z_EN: 1
; COMPUTE_PGM_RSRC2:TIDIG_COMP_CNT: 1
	.section	.text._ZL19rocblas_hpr2_kernelILi64ELi16ELi2EPK19rocblas_complex_numIdES3_PS1_EvbiT2_T3_lllS6_lllT4_lli,"axG",@progbits,_ZL19rocblas_hpr2_kernelILi64ELi16ELi2EPK19rocblas_complex_numIdES3_PS1_EvbiT2_T3_lllS6_lllT4_lli,comdat
	.globl	_ZL19rocblas_hpr2_kernelILi64ELi16ELi2EPK19rocblas_complex_numIdES3_PS1_EvbiT2_T3_lllS6_lllT4_lli ; -- Begin function _ZL19rocblas_hpr2_kernelILi64ELi16ELi2EPK19rocblas_complex_numIdES3_PS1_EvbiT2_T3_lllS6_lllT4_lli
	.p2align	8
	.type	_ZL19rocblas_hpr2_kernelILi64ELi16ELi2EPK19rocblas_complex_numIdES3_PS1_EvbiT2_T3_lllS6_lllT4_lli,@function
_ZL19rocblas_hpr2_kernelILi64ELi16ELi2EPK19rocblas_complex_numIdES3_PS1_EvbiT2_T3_lllS6_lllT4_lli: ; @_ZL19rocblas_hpr2_kernelILi64ELi16ELi2EPK19rocblas_complex_numIdES3_PS1_EvbiT2_T3_lllS6_lllT4_lli
; %bb.0:
	s_load_dwordx16 s[12:27], s[4:5], 0x8
	s_waitcnt lgkmcnt(0)
	s_load_dwordx4 s[28:31], s[12:13], 0x0
	s_waitcnt lgkmcnt(0)
	v_cmp_neq_f64_e64 s[0:1], s[28:29], 0
	v_cmp_neq_f64_e64 s[2:3], s[30:31], 0
	s_or_b64 s[0:1], s[0:1], s[2:3]
	s_andn2_b64 vcc, exec, s[0:1]
	s_cbranch_vccnz .LBB2_23
; %bb.1:
	s_load_dwordx2 s[10:11], s[4:5], 0x0
	s_mov_b64 s[0:1], -1
	v_lshl_add_u32 v7, s6, 7, v0
	v_lshl_add_u32 v6, s7, 4, v1
                                        ; implicit-def: $vgpr0
	s_waitcnt lgkmcnt(0)
	s_bitcmp1_b32 s10, 0
	s_cselect_b64 s[2:3], -1, 0
	s_xor_b64 s[12:13], s[2:3], -1
	s_and_b64 vcc, exec, s[12:13]
	s_cbranch_vccz .LBB2_3
; %bb.2:
	s_lshl_b32 s0, s11, 1
	v_sub_u32_e32 v0, s0, v6
	v_mad_u64_u32 v[0:1], s[0:1], v6, v0, v[6:7]
	v_sub_u32_e32 v1, v7, v6
	s_mov_b64 s[0:1], 0
	v_lshrrev_b32_e32 v2, 31, v0
	v_add_u32_e32 v0, v0, v2
	v_ashrrev_i32_e32 v0, 1, v0
	v_add_u32_e32 v0, v1, v0
.LBB2_3:
	s_andn2_b64 vcc, exec, s[0:1]
	s_cbranch_vccnz .LBB2_5
; %bb.4:
	v_mad_u64_u32 v[0:1], s[0:1], v6, v6, v[6:7]
	v_lshrrev_b32_e32 v1, 31, v0
	v_add_u32_e32 v0, v0, v1
	v_ashrrev_i32_e32 v0, 1, v0
	v_add_u32_e32 v0, v0, v7
.LBB2_5:
	s_mul_i32 s0, s21, s8
	s_mul_hi_u32 s1, s20, s8
	s_load_dwordx8 s[36:43], s[4:5], 0x48
	s_add_i32 s1, s1, s0
	s_mul_i32 s0, s20, s8
	s_lshl_b64 s[0:1], s[0:1], 4
	s_add_u32 s2, s14, s0
	s_addc_u32 s3, s15, s1
	s_lshl_b64 s[0:1], s[16:17], 4
	s_add_u32 s15, s2, s0
	s_addc_u32 s16, s3, s1
	s_waitcnt lgkmcnt(0)
	s_mul_i32 s0, s37, s8
	s_mul_hi_u32 s1, s36, s8
	s_add_i32 s1, s1, s0
	s_mul_i32 s0, s36, s8
	s_lshl_b64 s[0:1], s[0:1], 4
	s_add_u32 s2, s22, s0
	s_addc_u32 s3, s23, s1
	s_lshl_b64 s[0:1], s[24:25], 4
	s_add_u32 s10, s2, s0
	s_addc_u32 s14, s3, s1
	s_mul_i32 s0, s43, s8
	s_mul_hi_u32 s1, s42, s8
	s_add_i32 s1, s1, s0
	s_mul_i32 s0, s42, s8
	s_lshl_b64 s[0:1], s[0:1], 4
	s_add_u32 s2, s38, s0
	s_addc_u32 s3, s39, s1
	s_lshl_b64 s[0:1], s[40:41], 4
	s_add_u32 s8, s2, s0
	v_ashrrev_i32_e32 v3, 31, v6
	s_addc_u32 s9, s3, s1
	v_mul_lo_u32 v8, s27, v6
	v_mul_lo_u32 v9, s26, v3
	v_mad_u64_u32 v[1:2], s[2:3], s26, v6, 0
	v_mul_lo_u32 v10, s19, v6
	v_mul_lo_u32 v11, s18, v3
	v_mad_u64_u32 v[4:5], s[2:3], s18, v6, 0
	v_add3_u32 v2, v2, v9, v8
	v_lshlrev_b64 v[2:3], 4, v[1:2]
	v_add3_u32 v5, v5, v11, v10
	v_lshlrev_b64 v[4:5], 4, v[4:5]
	v_cmp_gt_i32_e64 s[0:1], s11, v6
	v_mov_b32_e32 v8, s14
	v_mov_b32_e32 v1, s16
	s_and_b64 vcc, exec, s[12:13]
	s_cbranch_vccz .LBB2_7
; %bb.6:
	v_cmp_le_i32_e32 vcc, s11, v7
	v_cmp_le_i32_e64 s[2:3], v7, v6
	s_or_b64 s[6:7], s[2:3], vcc
	s_mov_b64 s[2:3], 0
	s_mov_b64 s[4:5], -1
	s_and_b64 s[6:7], s[6:7], exec
	s_branch .LBB2_8
.LBB2_7:
	s_mov_b64 s[2:3], -1
	s_mov_b64 s[6:7], 0
	s_mov_b64 s[4:5], 0
.LBB2_8:
	v_add_co_u32_e32 v2, vcc, s10, v2
	v_addc_co_u32_e32 v3, vcc, v8, v3, vcc
	s_andn2_b64 vcc, exec, s[2:3]
	v_add_co_u32_e64 v4, s[2:3], s15, v4
	v_addc_co_u32_e64 v5, s[2:3], v1, v5, s[2:3]
	s_cbranch_vccz .LBB2_14
; %bb.9:
	s_and_saveexec_b64 s[2:3], s[6:7]
	s_xor_b64 s[6:7], exec, s[2:3]
	s_cbranch_execnz .LBB2_15
.LBB2_10:
	s_or_b64 exec, exec, s[6:7]
	v_ashrrev_i32_e32 v1, 31, v0
	s_and_saveexec_b64 s[2:3], s[4:5]
	s_cbranch_execz .LBB2_12
.LBB2_11:
	v_ashrrev_i32_e32 v18, 31, v7
	v_mul_lo_u32 v10, s19, v7
	v_mul_lo_u32 v11, s18, v18
	v_mad_u64_u32 v[8:9], s[4:5], s18, v7, 0
	v_add3_u32 v9, v9, v11, v10
	v_lshlrev_b64 v[8:9], 4, v[8:9]
	v_mov_b32_e32 v10, s16
	v_add_co_u32_e32 v8, vcc, s15, v8
	v_addc_co_u32_e32 v9, vcc, v10, v9, vcc
	global_load_dwordx4 v[8:11], v[8:9], off
	s_waitcnt vmcnt(0)
	v_mul_f64 v[12:13], s[30:31], v[10:11]
	v_mul_f64 v[10:11], s[28:29], v[10:11]
	v_fma_f64 v[12:13], s[28:29], v[8:9], -v[12:13]
	v_fma_f64 v[14:15], s[30:31], v[8:9], v[10:11]
	global_load_dwordx4 v[8:11], v[2:3], off
	s_waitcnt vmcnt(0)
	v_mul_f64 v[16:17], v[10:11], v[14:15]
	v_mul_f64 v[10:11], v[10:11], v[12:13]
	v_fma_f64 v[16:17], v[8:9], v[12:13], v[16:17]
	v_fma_f64 v[12:13], v[8:9], v[14:15], -v[10:11]
	v_mul_lo_u32 v10, s27, v7
	v_mul_lo_u32 v11, s26, v18
	v_mad_u64_u32 v[8:9], s[4:5], s26, v7, 0
	v_add3_u32 v9, v9, v11, v10
	v_lshlrev_b64 v[8:9], 4, v[8:9]
	v_mov_b32_e32 v10, s14
	v_add_co_u32_e32 v8, vcc, s10, v8
	v_addc_co_u32_e32 v9, vcc, v10, v9, vcc
	global_load_dwordx4 v[8:11], v[8:9], off
	s_waitcnt vmcnt(0)
	v_mul_f64 v[14:15], s[30:31], v[10:11]
	v_fma_f64 v[14:15], s[28:29], v[8:9], v[14:15]
	v_mul_f64 v[8:9], s[30:31], v[8:9]
	v_fma_f64 v[18:19], s[28:29], v[10:11], -v[8:9]
	global_load_dwordx4 v[8:11], v[4:5], off
	s_waitcnt vmcnt(0)
	v_mul_f64 v[20:21], v[10:11], v[18:19]
	v_mul_f64 v[10:11], v[10:11], v[14:15]
	v_fma_f64 v[20:21], v[8:9], v[14:15], v[20:21]
	v_fma_f64 v[8:9], v[8:9], v[18:19], -v[10:11]
	v_add_f64 v[14:15], v[16:17], v[20:21]
	v_add_f64 v[12:13], v[12:13], v[8:9]
	v_lshlrev_b64 v[8:9], 4, v[0:1]
	v_add_co_u32_e32 v16, vcc, s8, v8
	v_mov_b32_e32 v8, s9
	v_addc_co_u32_e32 v17, vcc, v8, v9, vcc
	global_load_dwordx4 v[8:11], v[16:17], off
	s_waitcnt vmcnt(0)
	v_add_f64 v[8:9], v[8:9], v[14:15]
	v_add_f64 v[10:11], v[10:11], v[12:13]
	global_store_dwordx4 v[16:17], v[8:11], off
.LBB2_12:
	s_or_b64 exec, exec, s[2:3]
	v_add_u32_e32 v7, 64, v7
	s_andn2_b64 vcc, exec, s[12:13]
	v_cmp_gt_i32_e64 s[2:3], s11, v7
	s_cbranch_vccnz .LBB2_18
; %bb.13:
	v_cmp_lt_i32_e32 vcc, v6, v7
	s_and_b64 s[2:3], s[2:3], vcc
	s_xor_b64 s[6:7], s[2:3], -1
	s_and_b64 s[2:3], s[2:3], exec
	s_and_b64 s[6:7], s[6:7], exec
	s_cbranch_execz .LBB2_19
	s_branch .LBB2_20
.LBB2_14:
	v_cmp_lt_i32_e32 vcc, v7, v6
	s_and_b64 s[2:3], vcc, s[0:1]
	s_xor_b64 s[20:21], s[2:3], -1
	s_andn2_b64 s[4:5], s[4:5], exec
	s_and_b64 s[2:3], s[2:3], exec
	s_or_b64 s[4:5], s[4:5], s[2:3]
	s_andn2_b64 s[2:3], s[6:7], exec
	s_and_b64 s[6:7], s[20:21], exec
	s_or_b64 s[6:7], s[2:3], s[6:7]
	s_and_saveexec_b64 s[2:3], s[6:7]
	s_xor_b64 s[6:7], exec, s[2:3]
	s_cbranch_execz .LBB2_10
.LBB2_15:
	v_cmp_eq_u32_e32 vcc, v7, v6
	v_cmp_gt_i32_e64 s[2:3], s11, v7
	s_and_b64 s[20:21], vcc, s[2:3]
	s_and_saveexec_b64 s[2:3], s[20:21]
	s_cbranch_execz .LBB2_17
; %bb.16:
	v_ashrrev_i32_e32 v1, 31, v7
	v_mul_lo_u32 v10, s19, v7
	v_mad_u64_u32 v[8:9], s[20:21], s18, v7, 0
	v_mul_lo_u32 v11, s18, v1
	v_mul_lo_u32 v18, s27, v7
	;; [unrolled: 1-line block ×3, first 2 shown]
	v_mov_b32_e32 v19, s14
	v_add3_u32 v9, v9, v11, v10
	v_lshlrev_b64 v[8:9], 4, v[8:9]
	v_mov_b32_e32 v10, s16
	v_add_co_u32_e32 v16, vcc, s15, v8
	v_addc_co_u32_e32 v17, vcc, v10, v9, vcc
	global_load_dwordx4 v[8:11], v[16:17], off
	global_load_dwordx4 v[12:15], v[2:3], off
	s_waitcnt vmcnt(1)
	v_mul_f64 v[16:17], s[30:31], v[10:11]
	v_mul_f64 v[10:11], s[28:29], v[10:11]
	v_fma_f64 v[16:17], s[28:29], v[8:9], -v[16:17]
	v_fma_f64 v[8:9], s[30:31], v[8:9], v[10:11]
	v_mad_u64_u32 v[10:11], s[20:21], s26, v7, 0
	v_add3_u32 v11, v11, v1, v18
	v_lshlrev_b64 v[10:11], 4, v[10:11]
	v_ashrrev_i32_e32 v1, 31, v0
	v_add_co_u32_e32 v10, vcc, s10, v10
	v_addc_co_u32_e32 v11, vcc, v19, v11, vcc
	s_waitcnt vmcnt(0)
	v_mul_f64 v[18:19], v[14:15], v[8:9]
	v_mul_f64 v[14:15], v[14:15], v[16:17]
	v_fma_f64 v[18:19], v[12:13], v[16:17], v[18:19]
	v_fma_f64 v[12:13], v[12:13], v[8:9], -v[14:15]
	global_load_dwordx4 v[8:11], v[10:11], off
	s_waitcnt vmcnt(0)
	v_mul_f64 v[14:15], s[30:31], v[10:11]
	v_mul_f64 v[16:17], s[30:31], v[8:9]
	v_fma_f64 v[14:15], s[28:29], v[8:9], v[14:15]
	v_fma_f64 v[16:17], s[28:29], v[10:11], -v[16:17]
	global_load_dwordx4 v[8:11], v[4:5], off
	s_waitcnt vmcnt(0)
	v_mul_f64 v[20:21], v[10:11], v[16:17]
	v_mul_f64 v[10:11], v[10:11], v[14:15]
	v_fma_f64 v[20:21], v[8:9], v[14:15], v[20:21]
	v_fma_f64 v[10:11], v[8:9], v[16:17], -v[10:11]
	v_lshlrev_b64 v[8:9], 4, v[0:1]
	v_mov_b32_e32 v15, s9
	v_add_co_u32_e32 v14, vcc, s8, v8
	v_addc_co_u32_e32 v15, vcc, v15, v9, vcc
	global_load_dwordx2 v[8:9], v[14:15], off
	v_add_f64 v[10:11], v[12:13], v[10:11]
	s_waitcnt vmcnt(0)
	v_add_f64 v[8:9], v[8:9], v[18:19]
	v_add_f64 v[8:9], v[8:9], v[20:21]
	global_store_dwordx4 v[14:15], v[8:11], off
.LBB2_17:
	s_or_b64 exec, exec, s[2:3]
	s_andn2_b64 s[4:5], s[4:5], exec
	s_or_b64 exec, exec, s[6:7]
	v_ashrrev_i32_e32 v1, 31, v0
	s_and_saveexec_b64 s[2:3], s[4:5]
	s_cbranch_execnz .LBB2_11
	s_branch .LBB2_12
.LBB2_18:
	s_mov_b64 s[6:7], 0
	s_mov_b64 s[2:3], 0
.LBB2_19:
	v_cmp_ge_i32_e32 vcc, v7, v6
	s_xor_b64 s[0:1], s[0:1], -1
	s_or_b64 s[0:1], s[0:1], vcc
	s_andn2_b64 s[4:5], s[6:7], exec
	s_and_b64 s[0:1], s[0:1], exec
	s_or_b64 s[2:3], s[2:3], exec
	s_or_b64 s[6:7], s[4:5], s[0:1]
.LBB2_20:
	s_and_saveexec_b64 s[4:5], s[6:7]
	s_cbranch_execnz .LBB2_24
; %bb.21:
	s_or_b64 exec, exec, s[4:5]
	s_and_saveexec_b64 s[0:1], s[2:3]
	s_cbranch_execz .LBB2_23
.LBB2_22:
	v_ashrrev_i32_e32 v6, 31, v7
	v_mul_lo_u32 v10, s19, v7
	v_mad_u64_u32 v[8:9], s[0:1], s18, v7, 0
	v_mul_lo_u32 v11, s18, v6
	v_mul_lo_u32 v12, s27, v7
	;; [unrolled: 1-line block ×3, first 2 shown]
	v_lshlrev_b64 v[0:1], 4, v[0:1]
	v_add3_u32 v9, v9, v11, v10
	v_lshlrev_b64 v[8:9], 4, v[8:9]
	v_mov_b32_e32 v10, s16
	v_add_co_u32_e32 v8, vcc, s15, v8
	v_addc_co_u32_e32 v9, vcc, v10, v9, vcc
	v_mad_u64_u32 v[10:11], s[0:1], s26, v7, 0
	global_load_dwordx4 v[6:9], v[8:9], off
	v_mov_b32_e32 v14, s9
	v_add3_u32 v11, v11, v13, v12
	v_lshlrev_b64 v[10:11], 4, v[10:11]
	v_mov_b32_e32 v12, s14
	v_add_co_u32_e32 v10, vcc, s10, v10
	v_addc_co_u32_e32 v11, vcc, v12, v11, vcc
	global_load_dwordx4 v[10:13], v[10:11], off
	v_add_co_u32_e32 v18, vcc, s8, v0
	v_addc_co_u32_e32 v19, vcc, v14, v1, vcc
	global_load_dwordx4 v[14:17], v[4:5], off
	s_waitcnt vmcnt(2)
	v_mul_f64 v[0:1], s[30:31], v[8:9]
	v_mul_f64 v[4:5], s[28:29], v[8:9]
	v_fma_f64 v[8:9], s[28:29], v[6:7], -v[0:1]
	s_waitcnt vmcnt(1)
	v_mul_f64 v[0:1], s[30:31], v[12:13]
	v_fma_f64 v[4:5], s[30:31], v[6:7], v[4:5]
	v_mul_f64 v[6:7], s[30:31], v[10:11]
	v_fma_f64 v[10:11], s[28:29], v[10:11], v[0:1]
	global_load_dwordx4 v[0:3], v[2:3], off
	v_fma_f64 v[6:7], s[28:29], v[12:13], -v[6:7]
	s_waitcnt vmcnt(0)
	v_mul_f64 v[12:13], v[2:3], v[4:5]
	v_mul_f64 v[2:3], v[2:3], v[8:9]
	v_fma_f64 v[12:13], v[0:1], v[8:9], v[12:13]
	v_fma_f64 v[4:5], v[0:1], v[4:5], -v[2:3]
	global_load_dwordx4 v[0:3], v[18:19], off offset:1024
	v_mul_f64 v[8:9], v[16:17], v[6:7]
	v_fma_f64 v[8:9], v[14:15], v[10:11], v[8:9]
	v_mul_f64 v[10:11], v[16:17], v[10:11]
	v_add_f64 v[8:9], v[12:13], v[8:9]
	v_fma_f64 v[6:7], v[14:15], v[6:7], -v[10:11]
	v_add_f64 v[4:5], v[4:5], v[6:7]
	s_waitcnt vmcnt(0)
	v_add_f64 v[0:1], v[0:1], v[8:9]
	v_add_f64 v[2:3], v[2:3], v[4:5]
	global_store_dwordx4 v[18:19], v[0:3], off offset:1024
.LBB2_23:
	s_endpgm
.LBB2_24:
	v_cmp_eq_u32_e32 vcc, v7, v6
	v_cmp_gt_i32_e64 s[0:1], s11, v7
	s_and_b64 s[6:7], vcc, s[0:1]
	s_and_saveexec_b64 s[0:1], s[6:7]
	s_cbranch_execz .LBB2_26
; %bb.25:
	global_load_dwordx4 v[8:11], v[4:5], off
	global_load_dwordx4 v[12:15], v[2:3], off
	v_mov_b32_e32 v6, s9
	s_waitcnt vmcnt(1)
	v_mul_f64 v[16:17], s[28:29], v[10:11]
	v_mul_f64 v[18:19], s[30:31], v[10:11]
	v_fma_f64 v[16:17], s[30:31], v[8:9], v[16:17]
	v_fma_f64 v[18:19], s[28:29], v[8:9], -v[18:19]
	s_waitcnt vmcnt(0)
	v_mul_f64 v[20:21], v[14:15], v[16:17]
	v_fma_f64 v[20:21], v[12:13], v[18:19], v[20:21]
	v_mul_f64 v[18:19], v[14:15], v[18:19]
	v_fma_f64 v[16:17], v[12:13], v[16:17], -v[18:19]
	v_mul_f64 v[18:19], s[30:31], v[12:13]
	v_fma_f64 v[18:19], s[28:29], v[14:15], -v[18:19]
	v_mul_f64 v[14:15], s[30:31], v[14:15]
	v_fma_f64 v[12:13], s[28:29], v[12:13], v[14:15]
	v_mul_f64 v[14:15], v[10:11], v[18:19]
	v_mul_f64 v[10:11], v[10:11], v[12:13]
	v_fma_f64 v[14:15], v[8:9], v[12:13], v[14:15]
	v_fma_f64 v[10:11], v[8:9], v[18:19], -v[10:11]
	v_lshlrev_b64 v[8:9], 4, v[0:1]
	v_add_co_u32_e32 v12, vcc, s8, v8
	v_addc_co_u32_e32 v13, vcc, v6, v9, vcc
	global_load_dwordx2 v[8:9], v[12:13], off offset:1024
	v_add_f64 v[10:11], v[16:17], v[10:11]
	s_waitcnt vmcnt(0)
	v_add_f64 v[8:9], v[8:9], v[20:21]
	v_add_f64 v[8:9], v[8:9], v[14:15]
	global_store_dwordx4 v[12:13], v[8:11], off offset:1024
.LBB2_26:
	s_or_b64 exec, exec, s[0:1]
	s_andn2_b64 s[2:3], s[2:3], exec
	s_or_b64 exec, exec, s[4:5]
	s_and_saveexec_b64 s[0:1], s[2:3]
	s_cbranch_execnz .LBB2_22
	s_branch .LBB2_23
	.section	.rodata,"a",@progbits
	.p2align	6, 0x0
	.amdhsa_kernel _ZL19rocblas_hpr2_kernelILi64ELi16ELi2EPK19rocblas_complex_numIdES3_PS1_EvbiT2_T3_lllS6_lllT4_lli
		.amdhsa_group_segment_fixed_size 0
		.amdhsa_private_segment_fixed_size 0
		.amdhsa_kernarg_size 108
		.amdhsa_user_sgpr_count 6
		.amdhsa_user_sgpr_private_segment_buffer 1
		.amdhsa_user_sgpr_dispatch_ptr 0
		.amdhsa_user_sgpr_queue_ptr 0
		.amdhsa_user_sgpr_kernarg_segment_ptr 1
		.amdhsa_user_sgpr_dispatch_id 0
		.amdhsa_user_sgpr_flat_scratch_init 0
		.amdhsa_user_sgpr_private_segment_size 0
		.amdhsa_uses_dynamic_stack 0
		.amdhsa_system_sgpr_private_segment_wavefront_offset 0
		.amdhsa_system_sgpr_workgroup_id_x 1
		.amdhsa_system_sgpr_workgroup_id_y 1
		.amdhsa_system_sgpr_workgroup_id_z 1
		.amdhsa_system_sgpr_workgroup_info 0
		.amdhsa_system_vgpr_workitem_id 1
		.amdhsa_next_free_vgpr 22
		.amdhsa_next_free_sgpr 44
		.amdhsa_reserve_vcc 1
		.amdhsa_reserve_flat_scratch 0
		.amdhsa_float_round_mode_32 0
		.amdhsa_float_round_mode_16_64 0
		.amdhsa_float_denorm_mode_32 3
		.amdhsa_float_denorm_mode_16_64 3
		.amdhsa_dx10_clamp 1
		.amdhsa_ieee_mode 1
		.amdhsa_fp16_overflow 0
		.amdhsa_exception_fp_ieee_invalid_op 0
		.amdhsa_exception_fp_denorm_src 0
		.amdhsa_exception_fp_ieee_div_zero 0
		.amdhsa_exception_fp_ieee_overflow 0
		.amdhsa_exception_fp_ieee_underflow 0
		.amdhsa_exception_fp_ieee_inexact 0
		.amdhsa_exception_int_div_zero 0
	.end_amdhsa_kernel
	.section	.text._ZL19rocblas_hpr2_kernelILi64ELi16ELi2EPK19rocblas_complex_numIdES3_PS1_EvbiT2_T3_lllS6_lllT4_lli,"axG",@progbits,_ZL19rocblas_hpr2_kernelILi64ELi16ELi2EPK19rocblas_complex_numIdES3_PS1_EvbiT2_T3_lllS6_lllT4_lli,comdat
.Lfunc_end2:
	.size	_ZL19rocblas_hpr2_kernelILi64ELi16ELi2EPK19rocblas_complex_numIdES3_PS1_EvbiT2_T3_lllS6_lllT4_lli, .Lfunc_end2-_ZL19rocblas_hpr2_kernelILi64ELi16ELi2EPK19rocblas_complex_numIdES3_PS1_EvbiT2_T3_lllS6_lllT4_lli
                                        ; -- End function
	.set _ZL19rocblas_hpr2_kernelILi64ELi16ELi2EPK19rocblas_complex_numIdES3_PS1_EvbiT2_T3_lllS6_lllT4_lli.num_vgpr, 22
	.set _ZL19rocblas_hpr2_kernelILi64ELi16ELi2EPK19rocblas_complex_numIdES3_PS1_EvbiT2_T3_lllS6_lllT4_lli.num_agpr, 0
	.set _ZL19rocblas_hpr2_kernelILi64ELi16ELi2EPK19rocblas_complex_numIdES3_PS1_EvbiT2_T3_lllS6_lllT4_lli.numbered_sgpr, 44
	.set _ZL19rocblas_hpr2_kernelILi64ELi16ELi2EPK19rocblas_complex_numIdES3_PS1_EvbiT2_T3_lllS6_lllT4_lli.num_named_barrier, 0
	.set _ZL19rocblas_hpr2_kernelILi64ELi16ELi2EPK19rocblas_complex_numIdES3_PS1_EvbiT2_T3_lllS6_lllT4_lli.private_seg_size, 0
	.set _ZL19rocblas_hpr2_kernelILi64ELi16ELi2EPK19rocblas_complex_numIdES3_PS1_EvbiT2_T3_lllS6_lllT4_lli.uses_vcc, 1
	.set _ZL19rocblas_hpr2_kernelILi64ELi16ELi2EPK19rocblas_complex_numIdES3_PS1_EvbiT2_T3_lllS6_lllT4_lli.uses_flat_scratch, 0
	.set _ZL19rocblas_hpr2_kernelILi64ELi16ELi2EPK19rocblas_complex_numIdES3_PS1_EvbiT2_T3_lllS6_lllT4_lli.has_dyn_sized_stack, 0
	.set _ZL19rocblas_hpr2_kernelILi64ELi16ELi2EPK19rocblas_complex_numIdES3_PS1_EvbiT2_T3_lllS6_lllT4_lli.has_recursion, 0
	.set _ZL19rocblas_hpr2_kernelILi64ELi16ELi2EPK19rocblas_complex_numIdES3_PS1_EvbiT2_T3_lllS6_lllT4_lli.has_indirect_call, 0
	.section	.AMDGPU.csdata,"",@progbits
; Kernel info:
; codeLenInByte = 2056
; TotalNumSgprs: 48
; NumVgprs: 22
; ScratchSize: 0
; MemoryBound: 0
; FloatMode: 240
; IeeeMode: 1
; LDSByteSize: 0 bytes/workgroup (compile time only)
; SGPRBlocks: 5
; VGPRBlocks: 5
; NumSGPRsForWavesPerEU: 48
; NumVGPRsForWavesPerEU: 22
; Occupancy: 10
; WaveLimiterHint : 0
; COMPUTE_PGM_RSRC2:SCRATCH_EN: 0
; COMPUTE_PGM_RSRC2:USER_SGPR: 6
; COMPUTE_PGM_RSRC2:TRAP_HANDLER: 0
; COMPUTE_PGM_RSRC2:TGID_X_EN: 1
; COMPUTE_PGM_RSRC2:TGID_Y_EN: 1
; COMPUTE_PGM_RSRC2:TGID_Z_EN: 1
; COMPUTE_PGM_RSRC2:TIDIG_COMP_CNT: 1
	.section	.text._ZL19rocblas_hpr2_kernelILi64ELi16ELi2E19rocblas_complex_numIdEPKS1_PS1_EvbiT2_T3_lllS6_lllT4_lli,"axG",@progbits,_ZL19rocblas_hpr2_kernelILi64ELi16ELi2E19rocblas_complex_numIdEPKS1_PS1_EvbiT2_T3_lllS6_lllT4_lli,comdat
	.globl	_ZL19rocblas_hpr2_kernelILi64ELi16ELi2E19rocblas_complex_numIdEPKS1_PS1_EvbiT2_T3_lllS6_lllT4_lli ; -- Begin function _ZL19rocblas_hpr2_kernelILi64ELi16ELi2E19rocblas_complex_numIdEPKS1_PS1_EvbiT2_T3_lllS6_lllT4_lli
	.p2align	8
	.type	_ZL19rocblas_hpr2_kernelILi64ELi16ELi2E19rocblas_complex_numIdEPKS1_PS1_EvbiT2_T3_lllS6_lllT4_lli,@function
_ZL19rocblas_hpr2_kernelILi64ELi16ELi2E19rocblas_complex_numIdEPKS1_PS1_EvbiT2_T3_lllS6_lllT4_lli: ; @_ZL19rocblas_hpr2_kernelILi64ELi16ELi2E19rocblas_complex_numIdEPKS1_PS1_EvbiT2_T3_lllS6_lllT4_lli
; %bb.0:
	s_load_dwordx16 s[12:27], s[4:5], 0x8
	s_waitcnt lgkmcnt(0)
	v_cmp_neq_f64_e64 s[0:1], s[12:13], 0
	v_cmp_neq_f64_e64 s[2:3], s[14:15], 0
	s_or_b64 s[0:1], s[0:1], s[2:3]
	s_andn2_b64 vcc, exec, s[0:1]
	s_cbranch_vccnz .LBB3_23
; %bb.1:
	s_load_dwordx2 s[10:11], s[4:5], 0x0
	s_mov_b64 s[0:1], -1
	v_lshl_add_u32 v7, s6, 7, v0
	v_lshl_add_u32 v6, s7, 4, v1
                                        ; implicit-def: $vgpr0
	s_waitcnt lgkmcnt(0)
	s_bitcmp1_b32 s10, 0
	s_cselect_b64 s[2:3], -1, 0
	s_xor_b64 s[28:29], s[2:3], -1
	s_and_b64 vcc, exec, s[28:29]
	s_cbranch_vccz .LBB3_3
; %bb.2:
	s_lshl_b32 s0, s11, 1
	v_sub_u32_e32 v0, s0, v6
	v_mad_u64_u32 v[0:1], s[0:1], v6, v0, v[6:7]
	v_sub_u32_e32 v1, v7, v6
	s_mov_b64 s[0:1], 0
	v_lshrrev_b32_e32 v2, 31, v0
	v_add_u32_e32 v0, v0, v2
	v_ashrrev_i32_e32 v0, 1, v0
	v_add_u32_e32 v0, v1, v0
.LBB3_3:
	s_andn2_b64 vcc, exec, s[0:1]
	s_cbranch_vccnz .LBB3_5
; %bb.4:
	v_mad_u64_u32 v[0:1], s[0:1], v6, v6, v[6:7]
	v_lshrrev_b32_e32 v1, 31, v0
	v_add_u32_e32 v0, v0, v1
	v_ashrrev_i32_e32 v0, 1, v0
	v_add_u32_e32 v0, v0, v7
.LBB3_5:
	s_mul_i32 s2, s23, s8
	s_mul_hi_u32 s3, s22, s8
	s_add_i32 s3, s3, s2
	s_mul_i32 s2, s22, s8
	s_load_dwordx8 s[36:43], s[4:5], 0x48
	s_load_dwordx2 s[0:1], s[4:5], 0x68
	s_lshl_b64 s[2:3], s[2:3], 4
	s_add_u32 s4, s16, s2
	s_addc_u32 s5, s17, s3
	s_lshl_b64 s[2:3], s[18:19], 4
	s_add_u32 s17, s4, s2
	s_addc_u32 s18, s5, s3
	s_waitcnt lgkmcnt(0)
	s_mul_i32 s2, s39, s8
	s_mul_hi_u32 s3, s38, s8
	s_add_i32 s3, s3, s2
	s_mul_i32 s2, s38, s8
	s_lshl_b64 s[2:3], s[2:3], 4
	s_add_u32 s4, s24, s2
	s_addc_u32 s5, s25, s3
	s_lshl_b64 s[2:3], s[26:27], 4
	s_add_u32 s10, s4, s2
	s_mul_i32 s1, s1, s8
	s_mul_hi_u32 s2, s0, s8
	s_addc_u32 s16, s5, s3
	s_add_i32 s1, s2, s1
	s_mul_i32 s0, s0, s8
	s_lshl_b64 s[0:1], s[0:1], 4
	s_add_u32 s2, s40, s0
	s_addc_u32 s3, s41, s1
	s_lshl_b64 s[0:1], s[42:43], 4
	s_add_u32 s8, s2, s0
	v_ashrrev_i32_e32 v3, 31, v6
	s_addc_u32 s9, s3, s1
	v_mul_lo_u32 v8, s37, v6
	v_mul_lo_u32 v9, s36, v3
	v_mad_u64_u32 v[1:2], s[2:3], s36, v6, 0
	v_mul_lo_u32 v10, s21, v6
	v_mul_lo_u32 v11, s20, v3
	v_mad_u64_u32 v[4:5], s[2:3], s20, v6, 0
	v_add3_u32 v2, v2, v9, v8
	v_lshlrev_b64 v[2:3], 4, v[1:2]
	v_add3_u32 v5, v5, v11, v10
	v_lshlrev_b64 v[4:5], 4, v[4:5]
	v_cmp_gt_i32_e64 s[0:1], s11, v6
	v_mov_b32_e32 v8, s16
	v_mov_b32_e32 v1, s18
	s_and_b64 vcc, exec, s[28:29]
	s_cbranch_vccz .LBB3_7
; %bb.6:
	v_cmp_le_i32_e32 vcc, s11, v7
	v_cmp_le_i32_e64 s[2:3], v7, v6
	s_or_b64 s[6:7], s[2:3], vcc
	s_mov_b64 s[2:3], 0
	s_mov_b64 s[4:5], -1
	s_and_b64 s[6:7], s[6:7], exec
	s_branch .LBB3_8
.LBB3_7:
	s_mov_b64 s[2:3], -1
	s_mov_b64 s[6:7], 0
	s_mov_b64 s[4:5], 0
.LBB3_8:
	v_add_co_u32_e32 v2, vcc, s10, v2
	v_addc_co_u32_e32 v3, vcc, v8, v3, vcc
	s_andn2_b64 vcc, exec, s[2:3]
	v_add_co_u32_e64 v4, s[2:3], s17, v4
	v_addc_co_u32_e64 v5, s[2:3], v1, v5, s[2:3]
	s_cbranch_vccz .LBB3_14
; %bb.9:
	s_and_saveexec_b64 s[2:3], s[6:7]
	s_xor_b64 s[6:7], exec, s[2:3]
	s_cbranch_execnz .LBB3_15
.LBB3_10:
	s_or_b64 exec, exec, s[6:7]
	v_ashrrev_i32_e32 v1, 31, v0
	s_and_saveexec_b64 s[2:3], s[4:5]
	s_cbranch_execz .LBB3_12
.LBB3_11:
	v_ashrrev_i32_e32 v18, 31, v7
	v_mul_lo_u32 v10, s21, v7
	v_mul_lo_u32 v11, s20, v18
	v_mad_u64_u32 v[8:9], s[4:5], s20, v7, 0
	v_add3_u32 v9, v9, v11, v10
	v_lshlrev_b64 v[8:9], 4, v[8:9]
	v_mov_b32_e32 v10, s18
	v_add_co_u32_e32 v8, vcc, s17, v8
	v_addc_co_u32_e32 v9, vcc, v10, v9, vcc
	global_load_dwordx4 v[8:11], v[8:9], off
	s_waitcnt vmcnt(0)
	v_mul_f64 v[12:13], s[14:15], v[10:11]
	v_mul_f64 v[10:11], s[12:13], v[10:11]
	v_fma_f64 v[12:13], s[12:13], v[8:9], -v[12:13]
	v_fma_f64 v[14:15], s[14:15], v[8:9], v[10:11]
	global_load_dwordx4 v[8:11], v[2:3], off
	s_waitcnt vmcnt(0)
	v_mul_f64 v[16:17], v[10:11], v[14:15]
	v_mul_f64 v[10:11], v[10:11], v[12:13]
	v_fma_f64 v[16:17], v[8:9], v[12:13], v[16:17]
	v_fma_f64 v[12:13], v[8:9], v[14:15], -v[10:11]
	v_mul_lo_u32 v10, s37, v7
	v_mul_lo_u32 v11, s36, v18
	v_mad_u64_u32 v[8:9], s[4:5], s36, v7, 0
	v_add3_u32 v9, v9, v11, v10
	v_lshlrev_b64 v[8:9], 4, v[8:9]
	v_mov_b32_e32 v10, s16
	v_add_co_u32_e32 v8, vcc, s10, v8
	v_addc_co_u32_e32 v9, vcc, v10, v9, vcc
	global_load_dwordx4 v[8:11], v[8:9], off
	s_waitcnt vmcnt(0)
	v_mul_f64 v[14:15], s[14:15], v[10:11]
	v_fma_f64 v[14:15], s[12:13], v[8:9], v[14:15]
	v_mul_f64 v[8:9], s[14:15], v[8:9]
	v_fma_f64 v[18:19], s[12:13], v[10:11], -v[8:9]
	global_load_dwordx4 v[8:11], v[4:5], off
	s_waitcnt vmcnt(0)
	v_mul_f64 v[20:21], v[10:11], v[18:19]
	v_mul_f64 v[10:11], v[10:11], v[14:15]
	v_fma_f64 v[20:21], v[8:9], v[14:15], v[20:21]
	v_fma_f64 v[8:9], v[8:9], v[18:19], -v[10:11]
	v_add_f64 v[14:15], v[16:17], v[20:21]
	v_add_f64 v[12:13], v[12:13], v[8:9]
	v_lshlrev_b64 v[8:9], 4, v[0:1]
	v_add_co_u32_e32 v16, vcc, s8, v8
	v_mov_b32_e32 v8, s9
	v_addc_co_u32_e32 v17, vcc, v8, v9, vcc
	global_load_dwordx4 v[8:11], v[16:17], off
	s_waitcnt vmcnt(0)
	v_add_f64 v[8:9], v[8:9], v[14:15]
	v_add_f64 v[10:11], v[10:11], v[12:13]
	global_store_dwordx4 v[16:17], v[8:11], off
.LBB3_12:
	s_or_b64 exec, exec, s[2:3]
	v_add_u32_e32 v7, 64, v7
	s_andn2_b64 vcc, exec, s[28:29]
	v_cmp_gt_i32_e64 s[2:3], s11, v7
	s_cbranch_vccnz .LBB3_18
; %bb.13:
	v_cmp_lt_i32_e32 vcc, v6, v7
	s_and_b64 s[2:3], s[2:3], vcc
	s_xor_b64 s[6:7], s[2:3], -1
	s_and_b64 s[2:3], s[2:3], exec
	s_and_b64 s[6:7], s[6:7], exec
	s_cbranch_execz .LBB3_19
	s_branch .LBB3_20
.LBB3_14:
	v_cmp_lt_i32_e32 vcc, v7, v6
	s_and_b64 s[2:3], vcc, s[0:1]
	s_xor_b64 s[22:23], s[2:3], -1
	s_andn2_b64 s[4:5], s[4:5], exec
	s_and_b64 s[2:3], s[2:3], exec
	s_or_b64 s[4:5], s[4:5], s[2:3]
	s_andn2_b64 s[2:3], s[6:7], exec
	s_and_b64 s[6:7], s[22:23], exec
	s_or_b64 s[6:7], s[2:3], s[6:7]
	s_and_saveexec_b64 s[2:3], s[6:7]
	s_xor_b64 s[6:7], exec, s[2:3]
	s_cbranch_execz .LBB3_10
.LBB3_15:
	v_cmp_eq_u32_e32 vcc, v7, v6
	v_cmp_gt_i32_e64 s[2:3], s11, v7
	s_and_b64 s[22:23], vcc, s[2:3]
	s_and_saveexec_b64 s[2:3], s[22:23]
	s_cbranch_execz .LBB3_17
; %bb.16:
	v_ashrrev_i32_e32 v1, 31, v7
	v_mul_lo_u32 v10, s21, v7
	v_mad_u64_u32 v[8:9], s[22:23], s20, v7, 0
	v_mul_lo_u32 v11, s20, v1
	v_mul_lo_u32 v18, s37, v7
	;; [unrolled: 1-line block ×3, first 2 shown]
	v_mov_b32_e32 v19, s16
	v_add3_u32 v9, v9, v11, v10
	v_lshlrev_b64 v[8:9], 4, v[8:9]
	v_mov_b32_e32 v10, s18
	v_add_co_u32_e32 v16, vcc, s17, v8
	v_addc_co_u32_e32 v17, vcc, v10, v9, vcc
	global_load_dwordx4 v[8:11], v[16:17], off
	global_load_dwordx4 v[12:15], v[2:3], off
	s_waitcnt vmcnt(1)
	v_mul_f64 v[16:17], s[14:15], v[10:11]
	v_mul_f64 v[10:11], s[12:13], v[10:11]
	v_fma_f64 v[16:17], s[12:13], v[8:9], -v[16:17]
	v_fma_f64 v[8:9], s[14:15], v[8:9], v[10:11]
	v_mad_u64_u32 v[10:11], s[22:23], s36, v7, 0
	v_add3_u32 v11, v11, v1, v18
	v_lshlrev_b64 v[10:11], 4, v[10:11]
	v_ashrrev_i32_e32 v1, 31, v0
	v_add_co_u32_e32 v10, vcc, s10, v10
	v_addc_co_u32_e32 v11, vcc, v19, v11, vcc
	s_waitcnt vmcnt(0)
	v_mul_f64 v[18:19], v[14:15], v[8:9]
	v_mul_f64 v[14:15], v[14:15], v[16:17]
	v_fma_f64 v[18:19], v[12:13], v[16:17], v[18:19]
	v_fma_f64 v[12:13], v[12:13], v[8:9], -v[14:15]
	global_load_dwordx4 v[8:11], v[10:11], off
	s_waitcnt vmcnt(0)
	v_mul_f64 v[14:15], s[14:15], v[10:11]
	v_mul_f64 v[16:17], s[14:15], v[8:9]
	v_fma_f64 v[14:15], s[12:13], v[8:9], v[14:15]
	v_fma_f64 v[16:17], s[12:13], v[10:11], -v[16:17]
	global_load_dwordx4 v[8:11], v[4:5], off
	s_waitcnt vmcnt(0)
	v_mul_f64 v[20:21], v[10:11], v[16:17]
	v_mul_f64 v[10:11], v[10:11], v[14:15]
	v_fma_f64 v[20:21], v[8:9], v[14:15], v[20:21]
	v_fma_f64 v[10:11], v[8:9], v[16:17], -v[10:11]
	v_lshlrev_b64 v[8:9], 4, v[0:1]
	v_mov_b32_e32 v15, s9
	v_add_co_u32_e32 v14, vcc, s8, v8
	v_addc_co_u32_e32 v15, vcc, v15, v9, vcc
	global_load_dwordx2 v[8:9], v[14:15], off
	v_add_f64 v[10:11], v[12:13], v[10:11]
	s_waitcnt vmcnt(0)
	v_add_f64 v[8:9], v[8:9], v[18:19]
	v_add_f64 v[8:9], v[8:9], v[20:21]
	global_store_dwordx4 v[14:15], v[8:11], off
.LBB3_17:
	s_or_b64 exec, exec, s[2:3]
	s_andn2_b64 s[4:5], s[4:5], exec
	s_or_b64 exec, exec, s[6:7]
	v_ashrrev_i32_e32 v1, 31, v0
	s_and_saveexec_b64 s[2:3], s[4:5]
	s_cbranch_execnz .LBB3_11
	s_branch .LBB3_12
.LBB3_18:
	s_mov_b64 s[6:7], 0
	s_mov_b64 s[2:3], 0
.LBB3_19:
	v_cmp_ge_i32_e32 vcc, v7, v6
	s_xor_b64 s[0:1], s[0:1], -1
	s_or_b64 s[0:1], s[0:1], vcc
	s_andn2_b64 s[4:5], s[6:7], exec
	s_and_b64 s[0:1], s[0:1], exec
	s_or_b64 s[2:3], s[2:3], exec
	s_or_b64 s[6:7], s[4:5], s[0:1]
.LBB3_20:
	s_and_saveexec_b64 s[4:5], s[6:7]
	s_cbranch_execnz .LBB3_24
; %bb.21:
	s_or_b64 exec, exec, s[4:5]
	s_and_saveexec_b64 s[0:1], s[2:3]
	s_cbranch_execz .LBB3_23
.LBB3_22:
	v_ashrrev_i32_e32 v6, 31, v7
	v_mul_lo_u32 v10, s21, v7
	v_mad_u64_u32 v[8:9], s[0:1], s20, v7, 0
	v_mul_lo_u32 v11, s20, v6
	v_mul_lo_u32 v12, s37, v7
	;; [unrolled: 1-line block ×3, first 2 shown]
	v_lshlrev_b64 v[0:1], 4, v[0:1]
	v_add3_u32 v9, v9, v11, v10
	v_lshlrev_b64 v[8:9], 4, v[8:9]
	v_mov_b32_e32 v10, s18
	v_add_co_u32_e32 v8, vcc, s17, v8
	v_addc_co_u32_e32 v9, vcc, v10, v9, vcc
	v_mad_u64_u32 v[10:11], s[0:1], s36, v7, 0
	global_load_dwordx4 v[6:9], v[8:9], off
	v_mov_b32_e32 v14, s9
	v_add3_u32 v11, v11, v13, v12
	v_lshlrev_b64 v[10:11], 4, v[10:11]
	v_mov_b32_e32 v12, s16
	v_add_co_u32_e32 v10, vcc, s10, v10
	v_addc_co_u32_e32 v11, vcc, v12, v11, vcc
	global_load_dwordx4 v[10:13], v[10:11], off
	v_add_co_u32_e32 v18, vcc, s8, v0
	v_addc_co_u32_e32 v19, vcc, v14, v1, vcc
	global_load_dwordx4 v[14:17], v[4:5], off
	s_waitcnt vmcnt(2)
	v_mul_f64 v[0:1], s[14:15], v[8:9]
	v_mul_f64 v[4:5], s[12:13], v[8:9]
	v_fma_f64 v[8:9], s[12:13], v[6:7], -v[0:1]
	s_waitcnt vmcnt(1)
	v_mul_f64 v[0:1], s[14:15], v[12:13]
	v_fma_f64 v[4:5], s[14:15], v[6:7], v[4:5]
	v_mul_f64 v[6:7], s[14:15], v[10:11]
	v_fma_f64 v[10:11], s[12:13], v[10:11], v[0:1]
	global_load_dwordx4 v[0:3], v[2:3], off
	v_fma_f64 v[6:7], s[12:13], v[12:13], -v[6:7]
	s_waitcnt vmcnt(0)
	v_mul_f64 v[12:13], v[2:3], v[4:5]
	v_mul_f64 v[2:3], v[2:3], v[8:9]
	v_fma_f64 v[12:13], v[0:1], v[8:9], v[12:13]
	v_fma_f64 v[4:5], v[0:1], v[4:5], -v[2:3]
	global_load_dwordx4 v[0:3], v[18:19], off offset:1024
	v_mul_f64 v[8:9], v[16:17], v[6:7]
	v_fma_f64 v[8:9], v[14:15], v[10:11], v[8:9]
	v_mul_f64 v[10:11], v[16:17], v[10:11]
	v_add_f64 v[8:9], v[12:13], v[8:9]
	v_fma_f64 v[6:7], v[14:15], v[6:7], -v[10:11]
	v_add_f64 v[4:5], v[4:5], v[6:7]
	s_waitcnt vmcnt(0)
	v_add_f64 v[0:1], v[0:1], v[8:9]
	v_add_f64 v[2:3], v[2:3], v[4:5]
	global_store_dwordx4 v[18:19], v[0:3], off offset:1024
.LBB3_23:
	s_endpgm
.LBB3_24:
	v_cmp_eq_u32_e32 vcc, v7, v6
	v_cmp_gt_i32_e64 s[0:1], s11, v7
	s_and_b64 s[6:7], vcc, s[0:1]
	s_and_saveexec_b64 s[0:1], s[6:7]
	s_cbranch_execz .LBB3_26
; %bb.25:
	global_load_dwordx4 v[8:11], v[4:5], off
	global_load_dwordx4 v[12:15], v[2:3], off
	v_mov_b32_e32 v6, s9
	s_waitcnt vmcnt(1)
	v_mul_f64 v[16:17], s[12:13], v[10:11]
	v_mul_f64 v[18:19], s[14:15], v[10:11]
	v_fma_f64 v[16:17], s[14:15], v[8:9], v[16:17]
	v_fma_f64 v[18:19], s[12:13], v[8:9], -v[18:19]
	s_waitcnt vmcnt(0)
	v_mul_f64 v[20:21], v[14:15], v[16:17]
	v_fma_f64 v[20:21], v[12:13], v[18:19], v[20:21]
	v_mul_f64 v[18:19], v[14:15], v[18:19]
	v_fma_f64 v[16:17], v[12:13], v[16:17], -v[18:19]
	v_mul_f64 v[18:19], s[14:15], v[12:13]
	v_fma_f64 v[18:19], s[12:13], v[14:15], -v[18:19]
	v_mul_f64 v[14:15], s[14:15], v[14:15]
	v_fma_f64 v[12:13], s[12:13], v[12:13], v[14:15]
	v_mul_f64 v[14:15], v[10:11], v[18:19]
	v_mul_f64 v[10:11], v[10:11], v[12:13]
	v_fma_f64 v[14:15], v[8:9], v[12:13], v[14:15]
	v_fma_f64 v[10:11], v[8:9], v[18:19], -v[10:11]
	v_lshlrev_b64 v[8:9], 4, v[0:1]
	v_add_co_u32_e32 v12, vcc, s8, v8
	v_addc_co_u32_e32 v13, vcc, v6, v9, vcc
	global_load_dwordx2 v[8:9], v[12:13], off offset:1024
	v_add_f64 v[10:11], v[16:17], v[10:11]
	s_waitcnt vmcnt(0)
	v_add_f64 v[8:9], v[8:9], v[20:21]
	v_add_f64 v[8:9], v[8:9], v[14:15]
	global_store_dwordx4 v[12:13], v[8:11], off offset:1024
.LBB3_26:
	s_or_b64 exec, exec, s[0:1]
	s_andn2_b64 s[2:3], s[2:3], exec
	s_or_b64 exec, exec, s[4:5]
	s_and_saveexec_b64 s[0:1], s[2:3]
	s_cbranch_execnz .LBB3_22
	s_branch .LBB3_23
	.section	.rodata,"a",@progbits
	.p2align	6, 0x0
	.amdhsa_kernel _ZL19rocblas_hpr2_kernelILi64ELi16ELi2E19rocblas_complex_numIdEPKS1_PS1_EvbiT2_T3_lllS6_lllT4_lli
		.amdhsa_group_segment_fixed_size 0
		.amdhsa_private_segment_fixed_size 0
		.amdhsa_kernarg_size 116
		.amdhsa_user_sgpr_count 6
		.amdhsa_user_sgpr_private_segment_buffer 1
		.amdhsa_user_sgpr_dispatch_ptr 0
		.amdhsa_user_sgpr_queue_ptr 0
		.amdhsa_user_sgpr_kernarg_segment_ptr 1
		.amdhsa_user_sgpr_dispatch_id 0
		.amdhsa_user_sgpr_flat_scratch_init 0
		.amdhsa_user_sgpr_private_segment_size 0
		.amdhsa_uses_dynamic_stack 0
		.amdhsa_system_sgpr_private_segment_wavefront_offset 0
		.amdhsa_system_sgpr_workgroup_id_x 1
		.amdhsa_system_sgpr_workgroup_id_y 1
		.amdhsa_system_sgpr_workgroup_id_z 1
		.amdhsa_system_sgpr_workgroup_info 0
		.amdhsa_system_vgpr_workitem_id 1
		.amdhsa_next_free_vgpr 22
		.amdhsa_next_free_sgpr 44
		.amdhsa_reserve_vcc 1
		.amdhsa_reserve_flat_scratch 0
		.amdhsa_float_round_mode_32 0
		.amdhsa_float_round_mode_16_64 0
		.amdhsa_float_denorm_mode_32 3
		.amdhsa_float_denorm_mode_16_64 3
		.amdhsa_dx10_clamp 1
		.amdhsa_ieee_mode 1
		.amdhsa_fp16_overflow 0
		.amdhsa_exception_fp_ieee_invalid_op 0
		.amdhsa_exception_fp_denorm_src 0
		.amdhsa_exception_fp_ieee_div_zero 0
		.amdhsa_exception_fp_ieee_overflow 0
		.amdhsa_exception_fp_ieee_underflow 0
		.amdhsa_exception_fp_ieee_inexact 0
		.amdhsa_exception_int_div_zero 0
	.end_amdhsa_kernel
	.section	.text._ZL19rocblas_hpr2_kernelILi64ELi16ELi2E19rocblas_complex_numIdEPKS1_PS1_EvbiT2_T3_lllS6_lllT4_lli,"axG",@progbits,_ZL19rocblas_hpr2_kernelILi64ELi16ELi2E19rocblas_complex_numIdEPKS1_PS1_EvbiT2_T3_lllS6_lllT4_lli,comdat
.Lfunc_end3:
	.size	_ZL19rocblas_hpr2_kernelILi64ELi16ELi2E19rocblas_complex_numIdEPKS1_PS1_EvbiT2_T3_lllS6_lllT4_lli, .Lfunc_end3-_ZL19rocblas_hpr2_kernelILi64ELi16ELi2E19rocblas_complex_numIdEPKS1_PS1_EvbiT2_T3_lllS6_lllT4_lli
                                        ; -- End function
	.set _ZL19rocblas_hpr2_kernelILi64ELi16ELi2E19rocblas_complex_numIdEPKS1_PS1_EvbiT2_T3_lllS6_lllT4_lli.num_vgpr, 22
	.set _ZL19rocblas_hpr2_kernelILi64ELi16ELi2E19rocblas_complex_numIdEPKS1_PS1_EvbiT2_T3_lllS6_lllT4_lli.num_agpr, 0
	.set _ZL19rocblas_hpr2_kernelILi64ELi16ELi2E19rocblas_complex_numIdEPKS1_PS1_EvbiT2_T3_lllS6_lllT4_lli.numbered_sgpr, 44
	.set _ZL19rocblas_hpr2_kernelILi64ELi16ELi2E19rocblas_complex_numIdEPKS1_PS1_EvbiT2_T3_lllS6_lllT4_lli.num_named_barrier, 0
	.set _ZL19rocblas_hpr2_kernelILi64ELi16ELi2E19rocblas_complex_numIdEPKS1_PS1_EvbiT2_T3_lllS6_lllT4_lli.private_seg_size, 0
	.set _ZL19rocblas_hpr2_kernelILi64ELi16ELi2E19rocblas_complex_numIdEPKS1_PS1_EvbiT2_T3_lllS6_lllT4_lli.uses_vcc, 1
	.set _ZL19rocblas_hpr2_kernelILi64ELi16ELi2E19rocblas_complex_numIdEPKS1_PS1_EvbiT2_T3_lllS6_lllT4_lli.uses_flat_scratch, 0
	.set _ZL19rocblas_hpr2_kernelILi64ELi16ELi2E19rocblas_complex_numIdEPKS1_PS1_EvbiT2_T3_lllS6_lllT4_lli.has_dyn_sized_stack, 0
	.set _ZL19rocblas_hpr2_kernelILi64ELi16ELi2E19rocblas_complex_numIdEPKS1_PS1_EvbiT2_T3_lllS6_lllT4_lli.has_recursion, 0
	.set _ZL19rocblas_hpr2_kernelILi64ELi16ELi2E19rocblas_complex_numIdEPKS1_PS1_EvbiT2_T3_lllS6_lllT4_lli.has_indirect_call, 0
	.section	.AMDGPU.csdata,"",@progbits
; Kernel info:
; codeLenInByte = 2052
; TotalNumSgprs: 48
; NumVgprs: 22
; ScratchSize: 0
; MemoryBound: 0
; FloatMode: 240
; IeeeMode: 1
; LDSByteSize: 0 bytes/workgroup (compile time only)
; SGPRBlocks: 5
; VGPRBlocks: 5
; NumSGPRsForWavesPerEU: 48
; NumVGPRsForWavesPerEU: 22
; Occupancy: 10
; WaveLimiterHint : 0
; COMPUTE_PGM_RSRC2:SCRATCH_EN: 0
; COMPUTE_PGM_RSRC2:USER_SGPR: 6
; COMPUTE_PGM_RSRC2:TRAP_HANDLER: 0
; COMPUTE_PGM_RSRC2:TGID_X_EN: 1
; COMPUTE_PGM_RSRC2:TGID_Y_EN: 1
; COMPUTE_PGM_RSRC2:TGID_Z_EN: 1
; COMPUTE_PGM_RSRC2:TIDIG_COMP_CNT: 1
	.section	.text._ZL19rocblas_hpr2_kernelILi64ELi16ELi2EPK19rocblas_complex_numIfEPKS3_PKPS1_EvbiT2_T3_lllSA_lllT4_lli,"axG",@progbits,_ZL19rocblas_hpr2_kernelILi64ELi16ELi2EPK19rocblas_complex_numIfEPKS3_PKPS1_EvbiT2_T3_lllSA_lllT4_lli,comdat
	.globl	_ZL19rocblas_hpr2_kernelILi64ELi16ELi2EPK19rocblas_complex_numIfEPKS3_PKPS1_EvbiT2_T3_lllSA_lllT4_lli ; -- Begin function _ZL19rocblas_hpr2_kernelILi64ELi16ELi2EPK19rocblas_complex_numIfEPKS3_PKPS1_EvbiT2_T3_lllSA_lllT4_lli
	.p2align	8
	.type	_ZL19rocblas_hpr2_kernelILi64ELi16ELi2EPK19rocblas_complex_numIfEPKS3_PKPS1_EvbiT2_T3_lllSA_lllT4_lli,@function
_ZL19rocblas_hpr2_kernelILi64ELi16ELi2EPK19rocblas_complex_numIfEPKS3_PKPS1_EvbiT2_T3_lllSA_lllT4_lli: ; @_ZL19rocblas_hpr2_kernelILi64ELi16ELi2EPK19rocblas_complex_numIfEPKS3_PKPS1_EvbiT2_T3_lllSA_lllT4_lli
; %bb.0:
	s_load_dwordx8 s[12:19], s[4:5], 0x8
	s_mov_b32 s9, 0
	s_waitcnt lgkmcnt(0)
	s_load_dwordx2 s[10:11], s[12:13], 0x0
	s_waitcnt lgkmcnt(0)
	v_cmp_neq_f32_e64 s[0:1], s10, 0
	v_cmp_neq_f32_e64 s[2:3], s11, 0
	s_or_b64 s[0:1], s[0:1], s[2:3]
	s_andn2_b64 vcc, exec, s[0:1]
	s_cbranch_vccnz .LBB4_23
; %bb.1:
	s_load_dwordx2 s[24:25], s[4:5], 0x0
	s_load_dwordx4 s[0:3], s[4:5], 0x30
	s_load_dwordx2 s[12:13], s[4:5], 0x40
	s_load_dwordx4 s[20:23], s[4:5], 0x50
	s_mov_b64 s[26:27], -1
	v_lshl_add_u32 v7, s6, 7, v0
	s_waitcnt lgkmcnt(0)
	s_bitcmp1_b32 s24, 0
	s_cselect_b64 s[4:5], -1, 0
	s_xor_b64 s[4:5], s[4:5], -1
	s_lshl_b64 s[28:29], s[8:9], 3
	s_add_u32 s8, s14, s28
	s_addc_u32 s9, s15, s29
	s_add_u32 s0, s0, s28
	s_addc_u32 s1, s1, s29
	;; [unrolled: 2-line block ×3, first 2 shown]
	s_load_dwordx2 s[8:9], s[8:9], 0x0
	v_lshl_add_u32 v6, s7, 4, v1
	s_load_dwordx2 s[0:1], s[0:1], 0x0
	s_and_b64 vcc, exec, s[4:5]
	s_load_dwordx2 s[14:15], s[14:15], 0x0
                                        ; implicit-def: $vgpr0
	s_cbranch_vccz .LBB4_3
; %bb.2:
	s_lshl_b32 s6, s25, 1
	v_sub_u32_e32 v0, s6, v6
	v_mad_u64_u32 v[0:1], s[6:7], v6, v0, v[6:7]
	v_sub_u32_e32 v1, v7, v6
	s_mov_b64 s[26:27], 0
	v_lshrrev_b32_e32 v2, 31, v0
	v_add_u32_e32 v0, v0, v2
	v_ashrrev_i32_e32 v0, 1, v0
	v_add_u32_e32 v0, v1, v0
.LBB4_3:
	s_andn2_b64 vcc, exec, s[26:27]
	s_cbranch_vccnz .LBB4_5
; %bb.4:
	v_mad_u64_u32 v[0:1], s[6:7], v6, v6, v[6:7]
	v_lshrrev_b32_e32 v1, 31, v0
	v_add_u32_e32 v0, v0, v1
	v_ashrrev_i32_e32 v0, 1, v0
	v_add_u32_e32 v0, v0, v7
.LBB4_5:
	s_lshl_b64 s[6:7], s[16:17], 3
	s_waitcnt lgkmcnt(0)
	s_add_u32 s20, s8, s6
	s_addc_u32 s21, s9, s7
	s_lshl_b64 s[2:3], s[2:3], 3
	s_add_u32 s16, s0, s2
	v_ashrrev_i32_e32 v3, 31, v6
	s_addc_u32 s17, s1, s3
	v_mul_lo_u32 v8, s13, v6
	v_mul_lo_u32 v9, s12, v3
	v_mad_u64_u32 v[1:2], s[2:3], s12, v6, 0
	v_mul_lo_u32 v10, s19, v6
	v_mul_lo_u32 v11, s18, v3
	v_mad_u64_u32 v[4:5], s[2:3], s18, v6, 0
	s_lshl_b64 s[0:1], s[22:23], 3
	v_add3_u32 v2, v2, v9, v8
	v_add3_u32 v5, v5, v11, v10
	s_add_u32 s14, s14, s0
	v_lshlrev_b64 v[2:3], 3, v[1:2]
	v_lshlrev_b64 v[4:5], 3, v[4:5]
	s_addc_u32 s15, s15, s1
	v_cmp_gt_i32_e64 s[0:1], s25, v6
	v_mov_b32_e32 v8, s17
	v_mov_b32_e32 v1, s21
	s_and_b64 vcc, exec, s[4:5]
	s_cbranch_vccz .LBB4_7
; %bb.6:
	v_cmp_le_i32_e32 vcc, s25, v7
	v_cmp_le_i32_e64 s[2:3], v7, v6
	s_or_b64 s[8:9], s[2:3], vcc
	s_mov_b64 s[2:3], 0
	s_mov_b64 s[6:7], -1
	s_and_b64 s[8:9], s[8:9], exec
	s_branch .LBB4_8
.LBB4_7:
	s_mov_b64 s[2:3], -1
	s_mov_b64 s[8:9], 0
	s_mov_b64 s[6:7], 0
.LBB4_8:
	v_add_co_u32_e32 v2, vcc, s16, v2
	v_addc_co_u32_e32 v3, vcc, v8, v3, vcc
	s_andn2_b64 vcc, exec, s[2:3]
	v_add_co_u32_e64 v4, s[2:3], s20, v4
	v_addc_co_u32_e64 v5, s[2:3], v1, v5, s[2:3]
	s_cbranch_vccz .LBB4_14
; %bb.9:
	s_and_saveexec_b64 s[2:3], s[8:9]
	s_xor_b64 s[8:9], exec, s[2:3]
	s_cbranch_execnz .LBB4_15
.LBB4_10:
	s_or_b64 exec, exec, s[8:9]
	v_ashrrev_i32_e32 v1, 31, v0
	s_and_saveexec_b64 s[2:3], s[6:7]
	s_cbranch_execz .LBB4_12
.LBB4_11:
	v_ashrrev_i32_e32 v10, 31, v7
	v_mul_lo_u32 v11, s19, v7
	v_mad_u64_u32 v[8:9], s[6:7], s18, v7, 0
	v_mul_lo_u32 v12, s18, v10
	v_mul_lo_u32 v13, s13, v7
	;; [unrolled: 1-line block ×3, first 2 shown]
	v_mov_b32_e32 v16, s15
	v_add3_u32 v9, v9, v12, v11
	v_mad_u64_u32 v[10:11], s[6:7], s12, v7, 0
	v_lshlrev_b64 v[8:9], 3, v[8:9]
	v_mov_b32_e32 v12, s21
	v_add3_u32 v11, v11, v14, v13
	v_add_co_u32_e32 v8, vcc, s20, v8
	v_lshlrev_b64 v[10:11], 3, v[10:11]
	v_addc_co_u32_e32 v9, vcc, v12, v9, vcc
	flat_load_dwordx2 v[8:9], v[8:9]
	v_mov_b32_e32 v12, s17
	v_add_co_u32_e32 v10, vcc, s16, v10
	v_addc_co_u32_e32 v11, vcc, v12, v11, vcc
	flat_load_dwordx2 v[12:13], v[10:11]
	flat_load_dwordx2 v[14:15], v[2:3]
	v_lshlrev_b64 v[10:11], 3, v[0:1]
	v_add_co_u32_e32 v10, vcc, s14, v10
	v_addc_co_u32_e32 v11, vcc, v16, v11, vcc
	flat_load_dwordx2 v[16:17], v[4:5]
	s_waitcnt vmcnt(0) lgkmcnt(0)
	v_mul_f32_e32 v18, s11, v9
	v_mul_f32_e32 v19, s10, v9
	v_fma_f32 v18, s10, v8, -v18
	v_fmac_f32_e32 v19, s11, v8
	v_mul_f32_e32 v20, s11, v13
	v_mul_f32_e32 v8, s11, v12
	v_fmac_f32_e32 v20, s10, v12
	v_fma_f32 v12, s10, v13, -v8
	flat_load_dwordx2 v[8:9], v[10:11]
	v_mul_f32_e32 v13, v15, v19
	v_mul_f32_e32 v15, v15, v18
	v_fmac_f32_e32 v13, v14, v18
	v_fma_f32 v14, v14, v19, -v15
	v_mul_f32_e32 v15, v17, v12
	v_mul_f32_e32 v17, v17, v20
	v_fmac_f32_e32 v15, v16, v20
	v_fma_f32 v12, v16, v12, -v17
	v_add_f32_e32 v13, v13, v15
	v_add_f32_e32 v12, v14, v12
	s_waitcnt vmcnt(0) lgkmcnt(0)
	v_add_f32_e32 v8, v8, v13
	v_add_f32_e32 v9, v9, v12
	flat_store_dwordx2 v[10:11], v[8:9]
.LBB4_12:
	s_or_b64 exec, exec, s[2:3]
	v_add_u32_e32 v7, 64, v7
	s_andn2_b64 vcc, exec, s[4:5]
	v_cmp_gt_i32_e64 s[2:3], s25, v7
	s_cbranch_vccnz .LBB4_18
; %bb.13:
	v_cmp_lt_i32_e32 vcc, v6, v7
	s_and_b64 s[2:3], s[2:3], vcc
	s_xor_b64 s[6:7], s[2:3], -1
	s_and_b64 s[2:3], s[2:3], exec
	s_and_b64 s[6:7], s[6:7], exec
	s_cbranch_execz .LBB4_19
	s_branch .LBB4_20
.LBB4_14:
	v_cmp_lt_i32_e32 vcc, v7, v6
	s_and_b64 s[2:3], vcc, s[0:1]
	s_xor_b64 s[22:23], s[2:3], -1
	s_andn2_b64 s[6:7], s[6:7], exec
	s_and_b64 s[2:3], s[2:3], exec
	s_or_b64 s[6:7], s[6:7], s[2:3]
	s_andn2_b64 s[2:3], s[8:9], exec
	s_and_b64 s[8:9], s[22:23], exec
	s_or_b64 s[8:9], s[2:3], s[8:9]
	s_and_saveexec_b64 s[2:3], s[8:9]
	s_xor_b64 s[8:9], exec, s[2:3]
	s_cbranch_execz .LBB4_10
.LBB4_15:
	v_cmp_eq_u32_e32 vcc, v7, v6
	v_cmp_gt_i32_e64 s[2:3], s25, v7
	s_and_b64 s[22:23], vcc, s[2:3]
	s_and_saveexec_b64 s[2:3], s[22:23]
	s_cbranch_execz .LBB4_17
; %bb.16:
	v_ashrrev_i32_e32 v1, 31, v7
	v_mul_lo_u32 v10, s19, v7
	v_mad_u64_u32 v[8:9], s[22:23], s18, v7, 0
	v_mul_lo_u32 v11, s18, v1
	v_mul_lo_u32 v13, s13, v7
	;; [unrolled: 1-line block ×3, first 2 shown]
	v_mov_b32_e32 v12, s21
	v_add3_u32 v9, v9, v11, v10
	v_mad_u64_u32 v[10:11], s[22:23], s12, v7, 0
	v_lshlrev_b64 v[8:9], 3, v[8:9]
	flat_load_dwordx2 v[16:17], v[4:5]
	v_add3_u32 v11, v11, v1, v13
	v_add_co_u32_e32 v8, vcc, s20, v8
	v_lshlrev_b64 v[10:11], 3, v[10:11]
	v_addc_co_u32_e32 v9, vcc, v12, v9, vcc
	v_mov_b32_e32 v1, s17
	v_add_co_u32_e32 v10, vcc, s16, v10
	v_addc_co_u32_e32 v11, vcc, v1, v11, vcc
	v_ashrrev_i32_e32 v1, 31, v0
	flat_load_dwordx2 v[8:9], v[8:9]
	v_lshlrev_b64 v[14:15], 3, v[0:1]
	flat_load_dwordx2 v[10:11], v[10:11]
	v_mov_b32_e32 v1, s15
	flat_load_dwordx2 v[12:13], v[2:3]
	v_add_co_u32_e32 v14, vcc, s14, v14
	v_addc_co_u32_e32 v15, vcc, v1, v15, vcc
	flat_load_dword v1, v[14:15]
	s_waitcnt vmcnt(0) lgkmcnt(0)
	v_mul_f32_e32 v18, s11, v9
	v_mul_f32_e32 v9, s10, v9
	v_fma_f32 v18, s10, v8, -v18
	v_fmac_f32_e32 v9, s11, v8
	v_mul_f32_e32 v8, s11, v11
	v_mul_f32_e32 v19, s11, v10
	v_fmac_f32_e32 v8, s10, v10
	v_fma_f32 v10, s10, v11, -v19
	v_mul_f32_e32 v11, v13, v9
	v_mul_f32_e32 v13, v13, v18
	v_fmac_f32_e32 v11, v12, v18
	v_mul_f32_e32 v18, v17, v10
	v_fma_f32 v9, v12, v9, -v13
	v_mul_f32_e32 v12, v17, v8
	v_fmac_f32_e32 v18, v16, v8
	v_fma_f32 v10, v16, v10, -v12
	v_add_f32_e32 v1, v1, v11
	v_add_f32_e32 v8, v1, v18
	;; [unrolled: 1-line block ×3, first 2 shown]
	flat_store_dwordx2 v[14:15], v[8:9]
.LBB4_17:
	s_or_b64 exec, exec, s[2:3]
	s_andn2_b64 s[6:7], s[6:7], exec
	s_or_b64 exec, exec, s[8:9]
	v_ashrrev_i32_e32 v1, 31, v0
	s_and_saveexec_b64 s[2:3], s[6:7]
	s_cbranch_execnz .LBB4_11
	s_branch .LBB4_12
.LBB4_18:
	s_mov_b64 s[6:7], 0
	s_mov_b64 s[2:3], 0
.LBB4_19:
	v_cmp_ge_i32_e32 vcc, v7, v6
	s_xor_b64 s[0:1], s[0:1], -1
	s_or_b64 s[0:1], s[0:1], vcc
	s_andn2_b64 s[4:5], s[6:7], exec
	s_and_b64 s[0:1], s[0:1], exec
	s_or_b64 s[2:3], s[2:3], exec
	s_or_b64 s[6:7], s[4:5], s[0:1]
.LBB4_20:
	s_and_saveexec_b64 s[4:5], s[6:7]
	s_cbranch_execnz .LBB4_24
; %bb.21:
	s_or_b64 exec, exec, s[4:5]
	s_and_saveexec_b64 s[0:1], s[2:3]
	s_cbranch_execz .LBB4_23
.LBB4_22:
	v_ashrrev_i32_e32 v6, 31, v7
	v_mul_lo_u32 v10, s19, v7
	v_mad_u64_u32 v[8:9], s[0:1], s18, v7, 0
	v_mul_lo_u32 v11, s18, v6
	v_mul_lo_u32 v12, s12, v6
	v_lshlrev_b64 v[0:1], 3, v[0:1]
	v_add3_u32 v9, v9, v11, v10
	v_mul_lo_u32 v11, s13, v7
	v_mad_u64_u32 v[6:7], s[0:1], s12, v7, 0
	v_lshlrev_b64 v[8:9], 3, v[8:9]
	v_mov_b32_e32 v10, s21
	v_add3_u32 v7, v7, v12, v11
	v_add_co_u32_e32 v8, vcc, s20, v8
	v_lshlrev_b64 v[6:7], 3, v[6:7]
	v_addc_co_u32_e32 v9, vcc, v10, v9, vcc
	flat_load_dwordx2 v[8:9], v[8:9]
	v_mov_b32_e32 v10, s17
	v_add_co_u32_e32 v6, vcc, s16, v6
	v_addc_co_u32_e32 v7, vcc, v10, v7, vcc
	flat_load_dwordx2 v[10:11], v[6:7]
	flat_load_dwordx2 v[12:13], v[2:3]
	;; [unrolled: 1-line block ×3, first 2 shown]
	v_mov_b32_e32 v2, s15
	v_add_co_u32_e32 v0, vcc, s14, v0
	v_addc_co_u32_e32 v1, vcc, v2, v1, vcc
	flat_load_dwordx2 v[2:3], v[0:1] offset:512
	s_waitcnt vmcnt(0) lgkmcnt(0)
	v_mul_f32_e32 v4, s11, v9
	v_mul_f32_e32 v5, s10, v9
	v_fma_f32 v4, s10, v8, -v4
	v_fmac_f32_e32 v5, s11, v8
	v_mul_f32_e32 v6, s11, v11
	v_mul_f32_e32 v7, s11, v10
	v_fmac_f32_e32 v6, s10, v10
	v_fma_f32 v7, s10, v11, -v7
	v_mul_f32_e32 v8, v13, v5
	v_mul_f32_e32 v9, v13, v4
	;; [unrolled: 1-line block ×4, first 2 shown]
	v_fmac_f32_e32 v8, v12, v4
	v_fma_f32 v4, v12, v5, -v9
	v_fmac_f32_e32 v10, v14, v6
	v_fma_f32 v5, v14, v7, -v11
	v_add_f32_e32 v6, v8, v10
	v_add_f32_e32 v4, v4, v5
	;; [unrolled: 1-line block ×4, first 2 shown]
	flat_store_dwordx2 v[0:1], v[2:3] offset:512
.LBB4_23:
	s_endpgm
.LBB4_24:
	v_cmp_eq_u32_e32 vcc, v7, v6
	v_cmp_gt_i32_e64 s[0:1], s25, v7
	s_and_b64 s[6:7], vcc, s[0:1]
	s_and_saveexec_b64 s[0:1], s[6:7]
	s_cbranch_execz .LBB4_26
; %bb.25:
	v_lshlrev_b64 v[12:13], 3, v[0:1]
	flat_load_dwordx2 v[8:9], v[4:5]
	flat_load_dwordx2 v[10:11], v[2:3]
	v_mov_b32_e32 v6, s15
	v_add_co_u32_e32 v12, vcc, s14, v12
	v_addc_co_u32_e32 v13, vcc, v6, v13, vcc
	flat_load_dword v6, v[12:13] offset:512
	s_waitcnt vmcnt(0) lgkmcnt(0)
	v_mul_f32_e32 v15, s10, v9
	v_mul_f32_e32 v14, s11, v9
	v_mul_f32_e32 v16, s11, v11
	v_mul_f32_e32 v17, s11, v10
	v_fmac_f32_e32 v15, s11, v8
	v_fma_f32 v14, s10, v8, -v14
	v_fmac_f32_e32 v16, s10, v10
	v_fma_f32 v17, s10, v11, -v17
	v_mul_f32_e32 v18, v11, v15
	v_mul_f32_e32 v11, v11, v14
	v_mul_f32_e32 v19, v9, v17
	v_fmac_f32_e32 v18, v10, v14
	v_mul_f32_e32 v9, v9, v16
	v_fma_f32 v10, v10, v15, -v11
	v_fmac_f32_e32 v19, v8, v16
	v_fma_f32 v9, v8, v17, -v9
	v_add_f32_e32 v6, v6, v18
	v_add_f32_e32 v8, v6, v19
	;; [unrolled: 1-line block ×3, first 2 shown]
	flat_store_dwordx2 v[12:13], v[8:9] offset:512
.LBB4_26:
	s_or_b64 exec, exec, s[0:1]
	s_andn2_b64 s[2:3], s[2:3], exec
	s_or_b64 exec, exec, s[4:5]
	s_and_saveexec_b64 s[0:1], s[2:3]
	s_cbranch_execnz .LBB4_22
	s_branch .LBB4_23
	.section	.rodata,"a",@progbits
	.p2align	6, 0x0
	.amdhsa_kernel _ZL19rocblas_hpr2_kernelILi64ELi16ELi2EPK19rocblas_complex_numIfEPKS3_PKPS1_EvbiT2_T3_lllSA_lllT4_lli
		.amdhsa_group_segment_fixed_size 0
		.amdhsa_private_segment_fixed_size 0
		.amdhsa_kernarg_size 108
		.amdhsa_user_sgpr_count 6
		.amdhsa_user_sgpr_private_segment_buffer 1
		.amdhsa_user_sgpr_dispatch_ptr 0
		.amdhsa_user_sgpr_queue_ptr 0
		.amdhsa_user_sgpr_kernarg_segment_ptr 1
		.amdhsa_user_sgpr_dispatch_id 0
		.amdhsa_user_sgpr_flat_scratch_init 0
		.amdhsa_user_sgpr_private_segment_size 0
		.amdhsa_uses_dynamic_stack 0
		.amdhsa_system_sgpr_private_segment_wavefront_offset 0
		.amdhsa_system_sgpr_workgroup_id_x 1
		.amdhsa_system_sgpr_workgroup_id_y 1
		.amdhsa_system_sgpr_workgroup_id_z 1
		.amdhsa_system_sgpr_workgroup_info 0
		.amdhsa_system_vgpr_workitem_id 1
		.amdhsa_next_free_vgpr 21
		.amdhsa_next_free_sgpr 30
		.amdhsa_reserve_vcc 1
		.amdhsa_reserve_flat_scratch 0
		.amdhsa_float_round_mode_32 0
		.amdhsa_float_round_mode_16_64 0
		.amdhsa_float_denorm_mode_32 3
		.amdhsa_float_denorm_mode_16_64 3
		.amdhsa_dx10_clamp 1
		.amdhsa_ieee_mode 1
		.amdhsa_fp16_overflow 0
		.amdhsa_exception_fp_ieee_invalid_op 0
		.amdhsa_exception_fp_denorm_src 0
		.amdhsa_exception_fp_ieee_div_zero 0
		.amdhsa_exception_fp_ieee_overflow 0
		.amdhsa_exception_fp_ieee_underflow 0
		.amdhsa_exception_fp_ieee_inexact 0
		.amdhsa_exception_int_div_zero 0
	.end_amdhsa_kernel
	.section	.text._ZL19rocblas_hpr2_kernelILi64ELi16ELi2EPK19rocblas_complex_numIfEPKS3_PKPS1_EvbiT2_T3_lllSA_lllT4_lli,"axG",@progbits,_ZL19rocblas_hpr2_kernelILi64ELi16ELi2EPK19rocblas_complex_numIfEPKS3_PKPS1_EvbiT2_T3_lllSA_lllT4_lli,comdat
.Lfunc_end4:
	.size	_ZL19rocblas_hpr2_kernelILi64ELi16ELi2EPK19rocblas_complex_numIfEPKS3_PKPS1_EvbiT2_T3_lllSA_lllT4_lli, .Lfunc_end4-_ZL19rocblas_hpr2_kernelILi64ELi16ELi2EPK19rocblas_complex_numIfEPKS3_PKPS1_EvbiT2_T3_lllSA_lllT4_lli
                                        ; -- End function
	.set _ZL19rocblas_hpr2_kernelILi64ELi16ELi2EPK19rocblas_complex_numIfEPKS3_PKPS1_EvbiT2_T3_lllSA_lllT4_lli.num_vgpr, 21
	.set _ZL19rocblas_hpr2_kernelILi64ELi16ELi2EPK19rocblas_complex_numIfEPKS3_PKPS1_EvbiT2_T3_lllSA_lllT4_lli.num_agpr, 0
	.set _ZL19rocblas_hpr2_kernelILi64ELi16ELi2EPK19rocblas_complex_numIfEPKS3_PKPS1_EvbiT2_T3_lllSA_lllT4_lli.numbered_sgpr, 30
	.set _ZL19rocblas_hpr2_kernelILi64ELi16ELi2EPK19rocblas_complex_numIfEPKS3_PKPS1_EvbiT2_T3_lllSA_lllT4_lli.num_named_barrier, 0
	.set _ZL19rocblas_hpr2_kernelILi64ELi16ELi2EPK19rocblas_complex_numIfEPKS3_PKPS1_EvbiT2_T3_lllSA_lllT4_lli.private_seg_size, 0
	.set _ZL19rocblas_hpr2_kernelILi64ELi16ELi2EPK19rocblas_complex_numIfEPKS3_PKPS1_EvbiT2_T3_lllSA_lllT4_lli.uses_vcc, 1
	.set _ZL19rocblas_hpr2_kernelILi64ELi16ELi2EPK19rocblas_complex_numIfEPKS3_PKPS1_EvbiT2_T3_lllSA_lllT4_lli.uses_flat_scratch, 0
	.set _ZL19rocblas_hpr2_kernelILi64ELi16ELi2EPK19rocblas_complex_numIfEPKS3_PKPS1_EvbiT2_T3_lllSA_lllT4_lli.has_dyn_sized_stack, 0
	.set _ZL19rocblas_hpr2_kernelILi64ELi16ELi2EPK19rocblas_complex_numIfEPKS3_PKPS1_EvbiT2_T3_lllSA_lllT4_lli.has_recursion, 0
	.set _ZL19rocblas_hpr2_kernelILi64ELi16ELi2EPK19rocblas_complex_numIfEPKS3_PKPS1_EvbiT2_T3_lllSA_lllT4_lli.has_indirect_call, 0
	.section	.AMDGPU.csdata,"",@progbits
; Kernel info:
; codeLenInByte = 1748
; TotalNumSgprs: 34
; NumVgprs: 21
; ScratchSize: 0
; MemoryBound: 0
; FloatMode: 240
; IeeeMode: 1
; LDSByteSize: 0 bytes/workgroup (compile time only)
; SGPRBlocks: 4
; VGPRBlocks: 5
; NumSGPRsForWavesPerEU: 34
; NumVGPRsForWavesPerEU: 21
; Occupancy: 10
; WaveLimiterHint : 1
; COMPUTE_PGM_RSRC2:SCRATCH_EN: 0
; COMPUTE_PGM_RSRC2:USER_SGPR: 6
; COMPUTE_PGM_RSRC2:TRAP_HANDLER: 0
; COMPUTE_PGM_RSRC2:TGID_X_EN: 1
; COMPUTE_PGM_RSRC2:TGID_Y_EN: 1
; COMPUTE_PGM_RSRC2:TGID_Z_EN: 1
; COMPUTE_PGM_RSRC2:TIDIG_COMP_CNT: 1
	.section	.text._ZL19rocblas_hpr2_kernelILi64ELi16ELi2E19rocblas_complex_numIfEPKPKS1_PKPS1_EvbiT2_T3_lllSA_lllT4_lli,"axG",@progbits,_ZL19rocblas_hpr2_kernelILi64ELi16ELi2E19rocblas_complex_numIfEPKPKS1_PKPS1_EvbiT2_T3_lllSA_lllT4_lli,comdat
	.globl	_ZL19rocblas_hpr2_kernelILi64ELi16ELi2E19rocblas_complex_numIfEPKPKS1_PKPS1_EvbiT2_T3_lllSA_lllT4_lli ; -- Begin function _ZL19rocblas_hpr2_kernelILi64ELi16ELi2E19rocblas_complex_numIfEPKPKS1_PKPS1_EvbiT2_T3_lllSA_lllT4_lli
	.p2align	8
	.type	_ZL19rocblas_hpr2_kernelILi64ELi16ELi2E19rocblas_complex_numIfEPKPKS1_PKPS1_EvbiT2_T3_lllSA_lllT4_lli,@function
_ZL19rocblas_hpr2_kernelILi64ELi16ELi2E19rocblas_complex_numIfEPKPKS1_PKPS1_EvbiT2_T3_lllSA_lllT4_lli: ; @_ZL19rocblas_hpr2_kernelILi64ELi16ELi2E19rocblas_complex_numIfEPKPKS1_PKPS1_EvbiT2_T3_lllSA_lllT4_lli
; %bb.0:
	s_load_dwordx4 s[12:15], s[4:5], 0x0
	s_mov_b32 s9, 0
	s_waitcnt lgkmcnt(0)
	v_cmp_neq_f32_e64 s[0:1], s14, 0
	v_cmp_neq_f32_e64 s[2:3], s15, 0
	s_or_b64 s[0:1], s[0:1], s[2:3]
	s_andn2_b64 vcc, exec, s[0:1]
	s_cbranch_vccnz .LBB5_23
; %bb.1:
	s_bitcmp1_b32 s12, 0
	s_cselect_b64 s[0:1], -1, 0
	s_xor_b64 s[26:27], s[0:1], -1
	s_load_dwordx4 s[20:23], s[4:5], 0x10
	s_load_dwordx2 s[24:25], s[4:5], 0x20
	s_load_dwordx4 s[16:19], s[4:5], 0x30
	s_load_dwordx2 s[10:11], s[4:5], 0x40
	s_load_dwordx4 s[0:3], s[4:5], 0x50
	s_lshl_b64 s[30:31], s[8:9], 3
	s_waitcnt lgkmcnt(0)
	s_add_u32 s4, s20, s30
	s_addc_u32 s5, s21, s31
	s_add_u32 s8, s16, s30
	s_addc_u32 s9, s17, s31
	;; [unrolled: 2-line block ×3, first 2 shown]
	s_load_dwordx2 s[4:5], s[4:5], 0x0
	s_mov_b64 s[28:29], -1
	s_load_dwordx2 s[8:9], s[8:9], 0x0
	v_lshl_add_u32 v7, s6, 7, v0
	s_load_dwordx2 s[0:1], s[0:1], 0x0
	v_lshl_add_u32 v6, s7, 4, v1
	s_and_b64 vcc, exec, s[26:27]
                                        ; implicit-def: $vgpr0
	s_cbranch_vccz .LBB5_3
; %bb.2:
	s_lshl_b32 s6, s13, 1
	v_sub_u32_e32 v0, s6, v6
	v_mad_u64_u32 v[0:1], s[6:7], v6, v0, v[6:7]
	v_sub_u32_e32 v1, v7, v6
	s_mov_b64 s[28:29], 0
	v_lshrrev_b32_e32 v2, 31, v0
	v_add_u32_e32 v0, v0, v2
	v_ashrrev_i32_e32 v0, 1, v0
	v_add_u32_e32 v0, v1, v0
.LBB5_3:
	s_andn2_b64 vcc, exec, s[28:29]
	s_cbranch_vccnz .LBB5_5
; %bb.4:
	v_mad_u64_u32 v[0:1], s[6:7], v6, v6, v[6:7]
	v_lshrrev_b32_e32 v1, 31, v0
	v_add_u32_e32 v0, v0, v1
	v_ashrrev_i32_e32 v0, 1, v0
	v_add_u32_e32 v0, v0, v7
.LBB5_5:
	s_lshl_b64 s[6:7], s[22:23], 3
	s_waitcnt lgkmcnt(0)
	s_add_u32 s17, s4, s6
	s_addc_u32 s20, s5, s7
	s_lshl_b64 s[4:5], s[18:19], 3
	s_add_u32 s12, s8, s4
	s_addc_u32 s16, s9, s5
	s_lshl_b64 s[2:3], s[2:3], 3
	s_add_u32 s8, s0, s2
	v_ashrrev_i32_e32 v3, 31, v6
	s_addc_u32 s9, s1, s3
	v_mul_lo_u32 v8, s11, v6
	v_mul_lo_u32 v9, s10, v3
	v_mad_u64_u32 v[1:2], s[2:3], s10, v6, 0
	v_mul_lo_u32 v10, s25, v6
	v_mul_lo_u32 v11, s24, v3
	v_mad_u64_u32 v[4:5], s[2:3], s24, v6, 0
	v_add3_u32 v2, v2, v9, v8
	v_lshlrev_b64 v[2:3], 3, v[1:2]
	v_add3_u32 v5, v5, v11, v10
	v_lshlrev_b64 v[4:5], 3, v[4:5]
	v_cmp_gt_i32_e64 s[0:1], s13, v6
	v_mov_b32_e32 v8, s16
	v_mov_b32_e32 v1, s20
	s_and_b64 vcc, exec, s[26:27]
	s_cbranch_vccz .LBB5_7
; %bb.6:
	v_cmp_le_i32_e32 vcc, s13, v7
	v_cmp_le_i32_e64 s[2:3], v7, v6
	s_or_b64 s[6:7], s[2:3], vcc
	s_mov_b64 s[2:3], 0
	s_mov_b64 s[4:5], -1
	s_and_b64 s[6:7], s[6:7], exec
	s_branch .LBB5_8
.LBB5_7:
	s_mov_b64 s[2:3], -1
	s_mov_b64 s[6:7], 0
	s_mov_b64 s[4:5], 0
.LBB5_8:
	v_add_co_u32_e32 v2, vcc, s12, v2
	v_addc_co_u32_e32 v3, vcc, v8, v3, vcc
	s_andn2_b64 vcc, exec, s[2:3]
	v_add_co_u32_e64 v4, s[2:3], s17, v4
	v_addc_co_u32_e64 v5, s[2:3], v1, v5, s[2:3]
	s_cbranch_vccz .LBB5_14
; %bb.9:
	s_and_saveexec_b64 s[2:3], s[6:7]
	s_xor_b64 s[6:7], exec, s[2:3]
	s_cbranch_execnz .LBB5_15
.LBB5_10:
	s_or_b64 exec, exec, s[6:7]
	v_ashrrev_i32_e32 v1, 31, v0
	s_and_saveexec_b64 s[2:3], s[4:5]
	s_cbranch_execz .LBB5_12
.LBB5_11:
	v_ashrrev_i32_e32 v10, 31, v7
	v_mul_lo_u32 v11, s25, v7
	v_mad_u64_u32 v[8:9], s[4:5], s24, v7, 0
	v_mul_lo_u32 v12, s24, v10
	v_mul_lo_u32 v13, s11, v7
	;; [unrolled: 1-line block ×3, first 2 shown]
	v_mov_b32_e32 v16, s9
	v_add3_u32 v9, v9, v12, v11
	v_mad_u64_u32 v[10:11], s[4:5], s10, v7, 0
	v_lshlrev_b64 v[8:9], 3, v[8:9]
	v_mov_b32_e32 v12, s20
	v_add3_u32 v11, v11, v14, v13
	v_add_co_u32_e32 v8, vcc, s17, v8
	v_lshlrev_b64 v[10:11], 3, v[10:11]
	v_addc_co_u32_e32 v9, vcc, v12, v9, vcc
	flat_load_dwordx2 v[8:9], v[8:9]
	v_mov_b32_e32 v12, s16
	v_add_co_u32_e32 v10, vcc, s12, v10
	v_addc_co_u32_e32 v11, vcc, v12, v11, vcc
	flat_load_dwordx2 v[12:13], v[10:11]
	flat_load_dwordx2 v[14:15], v[2:3]
	v_lshlrev_b64 v[10:11], 3, v[0:1]
	v_add_co_u32_e32 v10, vcc, s8, v10
	v_addc_co_u32_e32 v11, vcc, v16, v11, vcc
	flat_load_dwordx2 v[16:17], v[4:5]
	s_waitcnt vmcnt(0) lgkmcnt(0)
	v_mul_f32_e32 v18, s15, v9
	v_mul_f32_e32 v19, s14, v9
	v_fma_f32 v18, s14, v8, -v18
	v_fmac_f32_e32 v19, s15, v8
	v_mul_f32_e32 v20, s15, v13
	v_mul_f32_e32 v8, s15, v12
	v_fmac_f32_e32 v20, s14, v12
	v_fma_f32 v12, s14, v13, -v8
	flat_load_dwordx2 v[8:9], v[10:11]
	v_mul_f32_e32 v13, v15, v19
	v_mul_f32_e32 v15, v15, v18
	v_fmac_f32_e32 v13, v14, v18
	v_fma_f32 v14, v14, v19, -v15
	v_mul_f32_e32 v15, v17, v12
	v_mul_f32_e32 v17, v17, v20
	v_fmac_f32_e32 v15, v16, v20
	v_fma_f32 v12, v16, v12, -v17
	v_add_f32_e32 v13, v13, v15
	v_add_f32_e32 v12, v14, v12
	s_waitcnt vmcnt(0) lgkmcnt(0)
	v_add_f32_e32 v8, v8, v13
	v_add_f32_e32 v9, v9, v12
	flat_store_dwordx2 v[10:11], v[8:9]
.LBB5_12:
	s_or_b64 exec, exec, s[2:3]
	v_add_u32_e32 v7, 64, v7
	s_andn2_b64 vcc, exec, s[26:27]
	v_cmp_gt_i32_e64 s[2:3], s13, v7
	s_cbranch_vccnz .LBB5_18
; %bb.13:
	v_cmp_lt_i32_e32 vcc, v6, v7
	s_and_b64 s[2:3], s[2:3], vcc
	s_xor_b64 s[6:7], s[2:3], -1
	s_and_b64 s[2:3], s[2:3], exec
	s_and_b64 s[6:7], s[6:7], exec
	s_cbranch_execz .LBB5_19
	s_branch .LBB5_20
.LBB5_14:
	v_cmp_lt_i32_e32 vcc, v7, v6
	s_and_b64 s[2:3], vcc, s[0:1]
	s_xor_b64 s[18:19], s[2:3], -1
	s_andn2_b64 s[4:5], s[4:5], exec
	s_and_b64 s[2:3], s[2:3], exec
	s_or_b64 s[4:5], s[4:5], s[2:3]
	s_andn2_b64 s[2:3], s[6:7], exec
	s_and_b64 s[6:7], s[18:19], exec
	s_or_b64 s[6:7], s[2:3], s[6:7]
	s_and_saveexec_b64 s[2:3], s[6:7]
	s_xor_b64 s[6:7], exec, s[2:3]
	s_cbranch_execz .LBB5_10
.LBB5_15:
	v_cmp_eq_u32_e32 vcc, v7, v6
	v_cmp_gt_i32_e64 s[2:3], s13, v7
	s_and_b64 s[18:19], vcc, s[2:3]
	s_and_saveexec_b64 s[2:3], s[18:19]
	s_cbranch_execz .LBB5_17
; %bb.16:
	v_ashrrev_i32_e32 v1, 31, v7
	v_mul_lo_u32 v10, s25, v7
	v_mad_u64_u32 v[8:9], s[18:19], s24, v7, 0
	v_mul_lo_u32 v11, s24, v1
	v_mul_lo_u32 v13, s11, v7
	v_mul_lo_u32 v1, s10, v1
	v_mov_b32_e32 v12, s20
	v_add3_u32 v9, v9, v11, v10
	v_mad_u64_u32 v[10:11], s[18:19], s10, v7, 0
	v_lshlrev_b64 v[8:9], 3, v[8:9]
	flat_load_dwordx2 v[16:17], v[4:5]
	v_add3_u32 v11, v11, v1, v13
	v_add_co_u32_e32 v8, vcc, s17, v8
	v_lshlrev_b64 v[10:11], 3, v[10:11]
	v_addc_co_u32_e32 v9, vcc, v12, v9, vcc
	v_mov_b32_e32 v1, s16
	v_add_co_u32_e32 v10, vcc, s12, v10
	v_addc_co_u32_e32 v11, vcc, v1, v11, vcc
	v_ashrrev_i32_e32 v1, 31, v0
	flat_load_dwordx2 v[8:9], v[8:9]
	v_lshlrev_b64 v[14:15], 3, v[0:1]
	flat_load_dwordx2 v[10:11], v[10:11]
	v_mov_b32_e32 v1, s9
	flat_load_dwordx2 v[12:13], v[2:3]
	v_add_co_u32_e32 v14, vcc, s8, v14
	v_addc_co_u32_e32 v15, vcc, v1, v15, vcc
	flat_load_dword v1, v[14:15]
	s_waitcnt vmcnt(0) lgkmcnt(0)
	v_mul_f32_e32 v18, s15, v9
	v_mul_f32_e32 v9, s14, v9
	v_fma_f32 v18, s14, v8, -v18
	v_fmac_f32_e32 v9, s15, v8
	v_mul_f32_e32 v8, s15, v11
	v_mul_f32_e32 v19, s15, v10
	v_fmac_f32_e32 v8, s14, v10
	v_fma_f32 v10, s14, v11, -v19
	v_mul_f32_e32 v11, v13, v9
	v_mul_f32_e32 v13, v13, v18
	v_fmac_f32_e32 v11, v12, v18
	v_mul_f32_e32 v18, v17, v10
	v_fma_f32 v9, v12, v9, -v13
	v_mul_f32_e32 v12, v17, v8
	v_fmac_f32_e32 v18, v16, v8
	v_fma_f32 v10, v16, v10, -v12
	v_add_f32_e32 v1, v1, v11
	v_add_f32_e32 v8, v1, v18
	;; [unrolled: 1-line block ×3, first 2 shown]
	flat_store_dwordx2 v[14:15], v[8:9]
.LBB5_17:
	s_or_b64 exec, exec, s[2:3]
	s_andn2_b64 s[4:5], s[4:5], exec
	s_or_b64 exec, exec, s[6:7]
	v_ashrrev_i32_e32 v1, 31, v0
	s_and_saveexec_b64 s[2:3], s[4:5]
	s_cbranch_execnz .LBB5_11
	s_branch .LBB5_12
.LBB5_18:
	s_mov_b64 s[6:7], 0
	s_mov_b64 s[2:3], 0
.LBB5_19:
	v_cmp_ge_i32_e32 vcc, v7, v6
	s_xor_b64 s[0:1], s[0:1], -1
	s_or_b64 s[0:1], s[0:1], vcc
	s_andn2_b64 s[4:5], s[6:7], exec
	s_and_b64 s[0:1], s[0:1], exec
	s_or_b64 s[2:3], s[2:3], exec
	s_or_b64 s[6:7], s[4:5], s[0:1]
.LBB5_20:
	s_and_saveexec_b64 s[4:5], s[6:7]
	s_cbranch_execnz .LBB5_24
; %bb.21:
	s_or_b64 exec, exec, s[4:5]
	s_and_saveexec_b64 s[0:1], s[2:3]
	s_cbranch_execz .LBB5_23
.LBB5_22:
	v_ashrrev_i32_e32 v6, 31, v7
	v_mul_lo_u32 v10, s25, v7
	v_mad_u64_u32 v[8:9], s[0:1], s24, v7, 0
	v_mul_lo_u32 v11, s24, v6
	v_mul_lo_u32 v12, s10, v6
	v_lshlrev_b64 v[0:1], 3, v[0:1]
	v_add3_u32 v9, v9, v11, v10
	v_mul_lo_u32 v11, s11, v7
	v_mad_u64_u32 v[6:7], s[0:1], s10, v7, 0
	v_lshlrev_b64 v[8:9], 3, v[8:9]
	v_mov_b32_e32 v10, s20
	v_add3_u32 v7, v7, v12, v11
	v_add_co_u32_e32 v8, vcc, s17, v8
	v_lshlrev_b64 v[6:7], 3, v[6:7]
	v_addc_co_u32_e32 v9, vcc, v10, v9, vcc
	flat_load_dwordx2 v[8:9], v[8:9]
	v_mov_b32_e32 v10, s16
	v_add_co_u32_e32 v6, vcc, s12, v6
	v_addc_co_u32_e32 v7, vcc, v10, v7, vcc
	flat_load_dwordx2 v[10:11], v[6:7]
	flat_load_dwordx2 v[12:13], v[2:3]
	;; [unrolled: 1-line block ×3, first 2 shown]
	v_mov_b32_e32 v2, s9
	v_add_co_u32_e32 v0, vcc, s8, v0
	v_addc_co_u32_e32 v1, vcc, v2, v1, vcc
	flat_load_dwordx2 v[2:3], v[0:1] offset:512
	s_waitcnt vmcnt(0) lgkmcnt(0)
	v_mul_f32_e32 v4, s15, v9
	v_mul_f32_e32 v5, s14, v9
	v_fma_f32 v4, s14, v8, -v4
	v_fmac_f32_e32 v5, s15, v8
	v_mul_f32_e32 v6, s15, v11
	v_mul_f32_e32 v7, s15, v10
	v_fmac_f32_e32 v6, s14, v10
	v_fma_f32 v7, s14, v11, -v7
	v_mul_f32_e32 v8, v13, v5
	v_mul_f32_e32 v9, v13, v4
	;; [unrolled: 1-line block ×4, first 2 shown]
	v_fmac_f32_e32 v8, v12, v4
	v_fma_f32 v4, v12, v5, -v9
	v_fmac_f32_e32 v10, v14, v6
	v_fma_f32 v5, v14, v7, -v11
	v_add_f32_e32 v6, v8, v10
	v_add_f32_e32 v4, v4, v5
	;; [unrolled: 1-line block ×4, first 2 shown]
	flat_store_dwordx2 v[0:1], v[2:3] offset:512
.LBB5_23:
	s_endpgm
.LBB5_24:
	v_cmp_eq_u32_e32 vcc, v7, v6
	v_cmp_gt_i32_e64 s[0:1], s13, v7
	s_and_b64 s[6:7], vcc, s[0:1]
	s_and_saveexec_b64 s[0:1], s[6:7]
	s_cbranch_execz .LBB5_26
; %bb.25:
	v_lshlrev_b64 v[12:13], 3, v[0:1]
	flat_load_dwordx2 v[8:9], v[4:5]
	flat_load_dwordx2 v[10:11], v[2:3]
	v_mov_b32_e32 v6, s9
	v_add_co_u32_e32 v12, vcc, s8, v12
	v_addc_co_u32_e32 v13, vcc, v6, v13, vcc
	flat_load_dword v6, v[12:13] offset:512
	s_waitcnt vmcnt(0) lgkmcnt(0)
	v_mul_f32_e32 v15, s14, v9
	v_mul_f32_e32 v14, s15, v9
	v_mul_f32_e32 v16, s15, v11
	v_mul_f32_e32 v17, s15, v10
	v_fmac_f32_e32 v15, s15, v8
	v_fma_f32 v14, s14, v8, -v14
	v_fmac_f32_e32 v16, s14, v10
	v_fma_f32 v17, s14, v11, -v17
	v_mul_f32_e32 v18, v11, v15
	v_mul_f32_e32 v11, v11, v14
	;; [unrolled: 1-line block ×3, first 2 shown]
	v_fmac_f32_e32 v18, v10, v14
	v_mul_f32_e32 v9, v9, v16
	v_fma_f32 v10, v10, v15, -v11
	v_fmac_f32_e32 v19, v8, v16
	v_fma_f32 v9, v8, v17, -v9
	v_add_f32_e32 v6, v6, v18
	v_add_f32_e32 v8, v6, v19
	;; [unrolled: 1-line block ×3, first 2 shown]
	flat_store_dwordx2 v[12:13], v[8:9] offset:512
.LBB5_26:
	s_or_b64 exec, exec, s[0:1]
	s_andn2_b64 s[2:3], s[2:3], exec
	s_or_b64 exec, exec, s[4:5]
	s_and_saveexec_b64 s[0:1], s[2:3]
	s_cbranch_execnz .LBB5_22
	s_branch .LBB5_23
	.section	.rodata,"a",@progbits
	.p2align	6, 0x0
	.amdhsa_kernel _ZL19rocblas_hpr2_kernelILi64ELi16ELi2E19rocblas_complex_numIfEPKPKS1_PKPS1_EvbiT2_T3_lllSA_lllT4_lli
		.amdhsa_group_segment_fixed_size 0
		.amdhsa_private_segment_fixed_size 0
		.amdhsa_kernarg_size 108
		.amdhsa_user_sgpr_count 6
		.amdhsa_user_sgpr_private_segment_buffer 1
		.amdhsa_user_sgpr_dispatch_ptr 0
		.amdhsa_user_sgpr_queue_ptr 0
		.amdhsa_user_sgpr_kernarg_segment_ptr 1
		.amdhsa_user_sgpr_dispatch_id 0
		.amdhsa_user_sgpr_flat_scratch_init 0
		.amdhsa_user_sgpr_private_segment_size 0
		.amdhsa_uses_dynamic_stack 0
		.amdhsa_system_sgpr_private_segment_wavefront_offset 0
		.amdhsa_system_sgpr_workgroup_id_x 1
		.amdhsa_system_sgpr_workgroup_id_y 1
		.amdhsa_system_sgpr_workgroup_id_z 1
		.amdhsa_system_sgpr_workgroup_info 0
		.amdhsa_system_vgpr_workitem_id 1
		.amdhsa_next_free_vgpr 21
		.amdhsa_next_free_sgpr 32
		.amdhsa_reserve_vcc 1
		.amdhsa_reserve_flat_scratch 0
		.amdhsa_float_round_mode_32 0
		.amdhsa_float_round_mode_16_64 0
		.amdhsa_float_denorm_mode_32 3
		.amdhsa_float_denorm_mode_16_64 3
		.amdhsa_dx10_clamp 1
		.amdhsa_ieee_mode 1
		.amdhsa_fp16_overflow 0
		.amdhsa_exception_fp_ieee_invalid_op 0
		.amdhsa_exception_fp_denorm_src 0
		.amdhsa_exception_fp_ieee_div_zero 0
		.amdhsa_exception_fp_ieee_overflow 0
		.amdhsa_exception_fp_ieee_underflow 0
		.amdhsa_exception_fp_ieee_inexact 0
		.amdhsa_exception_int_div_zero 0
	.end_amdhsa_kernel
	.section	.text._ZL19rocblas_hpr2_kernelILi64ELi16ELi2E19rocblas_complex_numIfEPKPKS1_PKPS1_EvbiT2_T3_lllSA_lllT4_lli,"axG",@progbits,_ZL19rocblas_hpr2_kernelILi64ELi16ELi2E19rocblas_complex_numIfEPKPKS1_PKPS1_EvbiT2_T3_lllSA_lllT4_lli,comdat
.Lfunc_end5:
	.size	_ZL19rocblas_hpr2_kernelILi64ELi16ELi2E19rocblas_complex_numIfEPKPKS1_PKPS1_EvbiT2_T3_lllSA_lllT4_lli, .Lfunc_end5-_ZL19rocblas_hpr2_kernelILi64ELi16ELi2E19rocblas_complex_numIfEPKPKS1_PKPS1_EvbiT2_T3_lllSA_lllT4_lli
                                        ; -- End function
	.set _ZL19rocblas_hpr2_kernelILi64ELi16ELi2E19rocblas_complex_numIfEPKPKS1_PKPS1_EvbiT2_T3_lllSA_lllT4_lli.num_vgpr, 21
	.set _ZL19rocblas_hpr2_kernelILi64ELi16ELi2E19rocblas_complex_numIfEPKPKS1_PKPS1_EvbiT2_T3_lllSA_lllT4_lli.num_agpr, 0
	.set _ZL19rocblas_hpr2_kernelILi64ELi16ELi2E19rocblas_complex_numIfEPKPKS1_PKPS1_EvbiT2_T3_lllSA_lllT4_lli.numbered_sgpr, 32
	.set _ZL19rocblas_hpr2_kernelILi64ELi16ELi2E19rocblas_complex_numIfEPKPKS1_PKPS1_EvbiT2_T3_lllSA_lllT4_lli.num_named_barrier, 0
	.set _ZL19rocblas_hpr2_kernelILi64ELi16ELi2E19rocblas_complex_numIfEPKPKS1_PKPS1_EvbiT2_T3_lllSA_lllT4_lli.private_seg_size, 0
	.set _ZL19rocblas_hpr2_kernelILi64ELi16ELi2E19rocblas_complex_numIfEPKPKS1_PKPS1_EvbiT2_T3_lllSA_lllT4_lli.uses_vcc, 1
	.set _ZL19rocblas_hpr2_kernelILi64ELi16ELi2E19rocblas_complex_numIfEPKPKS1_PKPS1_EvbiT2_T3_lllSA_lllT4_lli.uses_flat_scratch, 0
	.set _ZL19rocblas_hpr2_kernelILi64ELi16ELi2E19rocblas_complex_numIfEPKPKS1_PKPS1_EvbiT2_T3_lllSA_lllT4_lli.has_dyn_sized_stack, 0
	.set _ZL19rocblas_hpr2_kernelILi64ELi16ELi2E19rocblas_complex_numIfEPKPKS1_PKPS1_EvbiT2_T3_lllSA_lllT4_lli.has_recursion, 0
	.set _ZL19rocblas_hpr2_kernelILi64ELi16ELi2E19rocblas_complex_numIfEPKPKS1_PKPS1_EvbiT2_T3_lllSA_lllT4_lli.has_indirect_call, 0
	.section	.AMDGPU.csdata,"",@progbits
; Kernel info:
; codeLenInByte = 1744
; TotalNumSgprs: 36
; NumVgprs: 21
; ScratchSize: 0
; MemoryBound: 0
; FloatMode: 240
; IeeeMode: 1
; LDSByteSize: 0 bytes/workgroup (compile time only)
; SGPRBlocks: 4
; VGPRBlocks: 5
; NumSGPRsForWavesPerEU: 36
; NumVGPRsForWavesPerEU: 21
; Occupancy: 10
; WaveLimiterHint : 1
; COMPUTE_PGM_RSRC2:SCRATCH_EN: 0
; COMPUTE_PGM_RSRC2:USER_SGPR: 6
; COMPUTE_PGM_RSRC2:TRAP_HANDLER: 0
; COMPUTE_PGM_RSRC2:TGID_X_EN: 1
; COMPUTE_PGM_RSRC2:TGID_Y_EN: 1
; COMPUTE_PGM_RSRC2:TGID_Z_EN: 1
; COMPUTE_PGM_RSRC2:TIDIG_COMP_CNT: 1
	.section	.text._ZL19rocblas_hpr2_kernelILi64ELi16ELi2EPK19rocblas_complex_numIdEPKS3_PKPS1_EvbiT2_T3_lllSA_lllT4_lli,"axG",@progbits,_ZL19rocblas_hpr2_kernelILi64ELi16ELi2EPK19rocblas_complex_numIdEPKS3_PKPS1_EvbiT2_T3_lllSA_lllT4_lli,comdat
	.globl	_ZL19rocblas_hpr2_kernelILi64ELi16ELi2EPK19rocblas_complex_numIdEPKS3_PKPS1_EvbiT2_T3_lllSA_lllT4_lli ; -- Begin function _ZL19rocblas_hpr2_kernelILi64ELi16ELi2EPK19rocblas_complex_numIdEPKS3_PKPS1_EvbiT2_T3_lllSA_lllT4_lli
	.p2align	8
	.type	_ZL19rocblas_hpr2_kernelILi64ELi16ELi2EPK19rocblas_complex_numIdEPKS3_PKPS1_EvbiT2_T3_lllSA_lllT4_lli,@function
_ZL19rocblas_hpr2_kernelILi64ELi16ELi2EPK19rocblas_complex_numIdEPKS3_PKPS1_EvbiT2_T3_lllSA_lllT4_lli: ; @_ZL19rocblas_hpr2_kernelILi64ELi16ELi2EPK19rocblas_complex_numIdEPKS3_PKPS1_EvbiT2_T3_lllSA_lllT4_lli
; %bb.0:
	s_load_dwordx8 s[12:19], s[4:5], 0x8
	s_waitcnt lgkmcnt(0)
	s_load_dwordx4 s[20:23], s[12:13], 0x0
	s_waitcnt lgkmcnt(0)
	v_cmp_neq_f64_e64 s[0:1], s[20:21], 0
	v_cmp_neq_f64_e64 s[2:3], s[22:23], 0
	s_or_b64 s[0:1], s[0:1], s[2:3]
	s_andn2_b64 vcc, exec, s[0:1]
	s_cbranch_vccnz .LBB6_23
; %bb.1:
	s_load_dwordx2 s[12:13], s[4:5], 0x0
	s_load_dwordx4 s[0:3], s[4:5], 0x30
	s_load_dwordx2 s[10:11], s[4:5], 0x40
	s_load_dwordx4 s[24:27], s[4:5], 0x50
	s_mov_b32 s9, 0
	s_mov_b64 s[28:29], -1
	s_waitcnt lgkmcnt(0)
	s_bitcmp1_b32 s12, 0
	s_cselect_b64 s[4:5], -1, 0
	s_xor_b64 s[4:5], s[4:5], -1
	s_lshl_b64 s[30:31], s[8:9], 3
	s_add_u32 s8, s14, s30
	s_addc_u32 s9, s15, s31
	s_add_u32 s0, s0, s30
	s_addc_u32 s1, s1, s31
	s_add_u32 s14, s24, s30
	s_addc_u32 s15, s25, s31
	s_load_dwordx2 s[8:9], s[8:9], 0x0
	v_lshl_add_u32 v7, s6, 7, v0
	s_load_dwordx2 s[0:1], s[0:1], 0x0
	v_lshl_add_u32 v6, s7, 4, v1
	s_load_dwordx2 s[14:15], s[14:15], 0x0
	s_and_b64 vcc, exec, s[4:5]
                                        ; implicit-def: $vgpr0
	s_cbranch_vccz .LBB6_3
; %bb.2:
	s_lshl_b32 s6, s13, 1
	v_sub_u32_e32 v0, s6, v6
	v_mad_u64_u32 v[0:1], s[6:7], v6, v0, v[6:7]
	v_sub_u32_e32 v1, v7, v6
	s_mov_b64 s[28:29], 0
	v_lshrrev_b32_e32 v2, 31, v0
	v_add_u32_e32 v0, v0, v2
	v_ashrrev_i32_e32 v0, 1, v0
	v_add_u32_e32 v0, v1, v0
.LBB6_3:
	s_andn2_b64 vcc, exec, s[28:29]
	s_cbranch_vccnz .LBB6_5
; %bb.4:
	v_mad_u64_u32 v[0:1], s[6:7], v6, v6, v[6:7]
	v_lshrrev_b32_e32 v1, 31, v0
	v_add_u32_e32 v0, v0, v1
	v_ashrrev_i32_e32 v0, 1, v0
	v_add_u32_e32 v0, v0, v7
.LBB6_5:
	s_lshl_b64 s[6:7], s[16:17], 4
	s_waitcnt lgkmcnt(0)
	s_add_u32 s24, s8, s6
	s_addc_u32 s25, s9, s7
	s_lshl_b64 s[2:3], s[2:3], 4
	s_add_u32 s16, s0, s2
	v_ashrrev_i32_e32 v3, 31, v6
	s_addc_u32 s17, s1, s3
	v_mul_lo_u32 v4, s11, v6
	v_mul_lo_u32 v5, s10, v3
	v_mad_u64_u32 v[1:2], s[2:3], s10, v6, 0
	v_mul_lo_u32 v11, s19, v6
	v_mul_lo_u32 v3, s18, v3
	v_mad_u64_u32 v[9:10], s[2:3], s18, v6, 0
	s_lshl_b64 s[0:1], s[26:27], 4
	v_add3_u32 v2, v2, v5, v4
	v_add3_u32 v10, v10, v3, v11
	s_add_u32 s12, s14, s0
	v_lshlrev_b64 v[4:5], 4, v[1:2]
	v_lshlrev_b64 v[2:3], 4, v[9:10]
	s_addc_u32 s14, s15, s1
	v_cmp_gt_i32_e64 s[0:1], s13, v6
	v_mov_b32_e32 v8, s17
	v_mov_b32_e32 v1, s25
	s_and_b64 vcc, exec, s[4:5]
	s_cbranch_vccz .LBB6_7
; %bb.6:
	v_cmp_le_i32_e32 vcc, s13, v7
	v_cmp_le_i32_e64 s[2:3], v7, v6
	s_or_b64 s[8:9], s[2:3], vcc
	s_mov_b64 s[2:3], 0
	s_mov_b64 s[6:7], -1
	s_and_b64 s[8:9], s[8:9], exec
	s_branch .LBB6_8
.LBB6_7:
	s_mov_b64 s[2:3], -1
	s_mov_b64 s[8:9], 0
	s_mov_b64 s[6:7], 0
.LBB6_8:
	v_add_co_u32_e32 v4, vcc, s16, v4
	v_addc_co_u32_e32 v5, vcc, v8, v5, vcc
	s_andn2_b64 vcc, exec, s[2:3]
	v_add_co_u32_e64 v2, s[2:3], s24, v2
	v_addc_co_u32_e64 v3, s[2:3], v1, v3, s[2:3]
	s_cbranch_vccz .LBB6_14
; %bb.9:
	s_and_saveexec_b64 s[2:3], s[8:9]
	s_xor_b64 s[8:9], exec, s[2:3]
	s_cbranch_execnz .LBB6_15
.LBB6_10:
	s_or_b64 exec, exec, s[8:9]
	v_ashrrev_i32_e32 v1, 31, v0
	s_and_saveexec_b64 s[2:3], s[6:7]
	s_cbranch_execz .LBB6_12
.LBB6_11:
	v_ashrrev_i32_e32 v18, 31, v7
	v_mul_lo_u32 v10, s19, v7
	v_mad_u64_u32 v[8:9], s[6:7], s18, v7, 0
	v_mul_lo_u32 v11, s18, v18
	v_add3_u32 v9, v9, v11, v10
	v_lshlrev_b64 v[8:9], 4, v[8:9]
	v_mov_b32_e32 v10, s25
	v_add_co_u32_e32 v8, vcc, s24, v8
	v_addc_co_u32_e32 v9, vcc, v10, v9, vcc
	flat_load_dwordx4 v[8:11], v[8:9]
	s_waitcnt vmcnt(0) lgkmcnt(0)
	v_mul_f64 v[12:13], s[22:23], v[10:11]
	v_mul_f64 v[10:11], s[20:21], v[10:11]
	v_fma_f64 v[12:13], s[20:21], v[8:9], -v[12:13]
	v_fma_f64 v[14:15], s[22:23], v[8:9], v[10:11]
	flat_load_dwordx4 v[8:11], v[4:5]
	s_waitcnt vmcnt(0) lgkmcnt(0)
	v_mul_f64 v[16:17], v[10:11], v[14:15]
	v_mul_f64 v[10:11], v[10:11], v[12:13]
	v_fma_f64 v[16:17], v[8:9], v[12:13], v[16:17]
	v_fma_f64 v[12:13], v[8:9], v[14:15], -v[10:11]
	v_mul_lo_u32 v10, s11, v7
	v_mul_lo_u32 v11, s10, v18
	v_mad_u64_u32 v[8:9], s[6:7], s10, v7, 0
	v_add3_u32 v9, v9, v11, v10
	v_lshlrev_b64 v[8:9], 4, v[8:9]
	v_mov_b32_e32 v10, s17
	v_add_co_u32_e32 v8, vcc, s16, v8
	v_addc_co_u32_e32 v9, vcc, v10, v9, vcc
	flat_load_dwordx4 v[8:11], v[8:9]
	s_waitcnt vmcnt(0) lgkmcnt(0)
	v_mul_f64 v[14:15], s[22:23], v[8:9]
	v_fma_f64 v[14:15], s[20:21], v[10:11], -v[14:15]
	v_mul_f64 v[10:11], s[22:23], v[10:11]
	v_fma_f64 v[18:19], s[20:21], v[8:9], v[10:11]
	flat_load_dwordx4 v[8:11], v[2:3]
	s_waitcnt vmcnt(0) lgkmcnt(0)
	v_mul_f64 v[20:21], v[10:11], v[14:15]
	v_mul_f64 v[10:11], v[10:11], v[18:19]
	v_fma_f64 v[20:21], v[8:9], v[18:19], v[20:21]
	v_fma_f64 v[8:9], v[8:9], v[14:15], -v[10:11]
	v_lshlrev_b64 v[10:11], 4, v[0:1]
	v_mov_b32_e32 v15, s14
	v_add_co_u32_e32 v14, vcc, s12, v10
	v_addc_co_u32_e32 v15, vcc, v15, v11, vcc
	v_add_f64 v[16:17], v[16:17], v[20:21]
	v_add_f64 v[12:13], v[12:13], v[8:9]
	flat_load_dwordx4 v[8:11], v[14:15]
	s_waitcnt vmcnt(0) lgkmcnt(0)
	v_add_f64 v[8:9], v[8:9], v[16:17]
	v_add_f64 v[10:11], v[10:11], v[12:13]
	flat_store_dwordx4 v[14:15], v[8:11]
.LBB6_12:
	s_or_b64 exec, exec, s[2:3]
	v_add_u32_e32 v7, 64, v7
	s_andn2_b64 vcc, exec, s[4:5]
	v_cmp_gt_i32_e64 s[2:3], s13, v7
	s_cbranch_vccnz .LBB6_18
; %bb.13:
	v_cmp_lt_i32_e32 vcc, v6, v7
	s_and_b64 s[2:3], s[2:3], vcc
	s_xor_b64 s[6:7], s[2:3], -1
	s_and_b64 s[2:3], s[2:3], exec
	s_and_b64 s[6:7], s[6:7], exec
	s_cbranch_execz .LBB6_19
	s_branch .LBB6_20
.LBB6_14:
	v_cmp_lt_i32_e32 vcc, v7, v6
	s_and_b64 s[2:3], vcc, s[0:1]
	s_xor_b64 s[26:27], s[2:3], -1
	s_andn2_b64 s[6:7], s[6:7], exec
	s_and_b64 s[2:3], s[2:3], exec
	s_or_b64 s[6:7], s[6:7], s[2:3]
	s_andn2_b64 s[2:3], s[8:9], exec
	s_and_b64 s[8:9], s[26:27], exec
	s_or_b64 s[8:9], s[2:3], s[8:9]
	s_and_saveexec_b64 s[2:3], s[8:9]
	s_xor_b64 s[8:9], exec, s[2:3]
	s_cbranch_execz .LBB6_10
.LBB6_15:
	v_cmp_eq_u32_e32 vcc, v7, v6
	v_cmp_gt_i32_e64 s[2:3], s13, v7
	s_and_b64 s[26:27], vcc, s[2:3]
	s_and_saveexec_b64 s[2:3], s[26:27]
	s_cbranch_execz .LBB6_17
; %bb.16:
	v_ashrrev_i32_e32 v1, 31, v7
	v_mul_lo_u32 v10, s19, v7
	v_mad_u64_u32 v[8:9], s[26:27], s18, v7, 0
	v_mul_lo_u32 v11, s18, v1
	v_mul_lo_u32 v1, s10, v1
	v_add3_u32 v9, v9, v11, v10
	v_lshlrev_b64 v[8:9], 4, v[8:9]
	v_mov_b32_e32 v10, s25
	v_add_co_u32_e32 v8, vcc, s24, v8
	v_addc_co_u32_e32 v9, vcc, v10, v9, vcc
	flat_load_dwordx4 v[8:11], v[8:9]
	s_waitcnt vmcnt(0) lgkmcnt(0)
	v_mul_f64 v[12:13], s[20:21], v[10:11]
	v_mul_f64 v[10:11], s[22:23], v[10:11]
	v_fma_f64 v[12:13], s[22:23], v[8:9], v[12:13]
	v_fma_f64 v[14:15], s[20:21], v[8:9], -v[10:11]
	flat_load_dwordx4 v[8:11], v[4:5]
	s_waitcnt vmcnt(0) lgkmcnt(0)
	v_mul_f64 v[16:17], v[10:11], v[12:13]
	v_mul_f64 v[10:11], v[10:11], v[14:15]
	v_fma_f64 v[16:17], v[8:9], v[14:15], v[16:17]
	v_fma_f64 v[12:13], v[8:9], v[12:13], -v[10:11]
	v_mul_lo_u32 v10, s11, v7
	v_mad_u64_u32 v[8:9], s[26:27], s10, v7, 0
	v_add3_u32 v9, v9, v1, v10
	v_lshlrev_b64 v[8:9], 4, v[8:9]
	v_mov_b32_e32 v1, s17
	v_add_co_u32_e32 v8, vcc, s16, v8
	v_addc_co_u32_e32 v9, vcc, v1, v9, vcc
	flat_load_dwordx4 v[8:11], v[8:9]
	v_ashrrev_i32_e32 v1, 31, v0
	s_waitcnt vmcnt(0) lgkmcnt(0)
	v_mul_f64 v[14:15], s[22:23], v[10:11]
	v_fma_f64 v[14:15], s[20:21], v[8:9], v[14:15]
	v_mul_f64 v[8:9], s[22:23], v[8:9]
	v_fma_f64 v[18:19], s[20:21], v[10:11], -v[8:9]
	flat_load_dwordx4 v[8:11], v[2:3]
	s_waitcnt vmcnt(0) lgkmcnt(0)
	v_mul_f64 v[20:21], v[10:11], v[18:19]
	v_mul_f64 v[10:11], v[10:11], v[14:15]
	v_fma_f64 v[20:21], v[8:9], v[14:15], v[20:21]
	v_fma_f64 v[10:11], v[8:9], v[18:19], -v[10:11]
	v_lshlrev_b64 v[8:9], 4, v[0:1]
	v_mov_b32_e32 v15, s14
	v_add_co_u32_e32 v14, vcc, s12, v8
	v_addc_co_u32_e32 v15, vcc, v15, v9, vcc
	flat_load_dwordx2 v[8:9], v[14:15]
	v_add_f64 v[10:11], v[12:13], v[10:11]
	s_waitcnt vmcnt(0) lgkmcnt(0)
	v_add_f64 v[8:9], v[8:9], v[16:17]
	v_add_f64 v[8:9], v[8:9], v[20:21]
	flat_store_dwordx4 v[14:15], v[8:11]
.LBB6_17:
	s_or_b64 exec, exec, s[2:3]
	s_andn2_b64 s[6:7], s[6:7], exec
	s_or_b64 exec, exec, s[8:9]
	v_ashrrev_i32_e32 v1, 31, v0
	s_and_saveexec_b64 s[2:3], s[6:7]
	s_cbranch_execnz .LBB6_11
	s_branch .LBB6_12
.LBB6_18:
	s_mov_b64 s[6:7], 0
	s_mov_b64 s[2:3], 0
.LBB6_19:
	v_cmp_ge_i32_e32 vcc, v7, v6
	s_xor_b64 s[0:1], s[0:1], -1
	s_or_b64 s[0:1], s[0:1], vcc
	s_andn2_b64 s[4:5], s[6:7], exec
	s_and_b64 s[0:1], s[0:1], exec
	s_or_b64 s[2:3], s[2:3], exec
	s_or_b64 s[6:7], s[4:5], s[0:1]
.LBB6_20:
	s_and_saveexec_b64 s[4:5], s[6:7]
	s_cbranch_execnz .LBB6_24
; %bb.21:
	s_or_b64 exec, exec, s[4:5]
	s_and_saveexec_b64 s[0:1], s[2:3]
	s_cbranch_execz .LBB6_23
.LBB6_22:
	v_ashrrev_i32_e32 v6, 31, v7
	v_mul_lo_u32 v10, s19, v7
	v_mad_u64_u32 v[8:9], s[0:1], s18, v7, 0
	v_mul_lo_u32 v11, s18, v6
	v_mul_lo_u32 v6, s10, v6
	v_lshlrev_b64 v[0:1], 4, v[0:1]
	v_add3_u32 v9, v9, v11, v10
	v_lshlrev_b64 v[8:9], 4, v[8:9]
	v_mov_b32_e32 v10, s25
	v_add_co_u32_e32 v8, vcc, s24, v8
	v_addc_co_u32_e32 v9, vcc, v10, v9, vcc
	flat_load_dwordx4 v[8:11], v[8:9]
	s_waitcnt vmcnt(0) lgkmcnt(0)
	v_mul_f64 v[12:13], s[22:23], v[10:11]
	v_mul_f64 v[10:11], s[20:21], v[10:11]
	v_fma_f64 v[12:13], s[20:21], v[8:9], -v[12:13]
	v_fma_f64 v[14:15], s[22:23], v[8:9], v[10:11]
	flat_load_dwordx4 v[8:11], v[4:5]
	s_waitcnt vmcnt(0) lgkmcnt(0)
	v_mul_f64 v[4:5], v[10:11], v[14:15]
	v_fma_f64 v[16:17], v[8:9], v[12:13], v[4:5]
	v_mul_f64 v[4:5], v[10:11], v[12:13]
	v_mul_lo_u32 v10, s11, v7
	v_fma_f64 v[8:9], v[8:9], v[14:15], -v[4:5]
	v_mad_u64_u32 v[4:5], s[0:1], s10, v7, 0
	v_mov_b32_e32 v7, s17
	v_add3_u32 v5, v5, v6, v10
	v_lshlrev_b64 v[4:5], 4, v[4:5]
	v_add_co_u32_e32 v4, vcc, s16, v4
	v_addc_co_u32_e32 v5, vcc, v7, v5, vcc
	flat_load_dwordx4 v[4:7], v[4:5]
	s_waitcnt vmcnt(0) lgkmcnt(0)
	v_mul_f64 v[10:11], s[22:23], v[6:7]
	v_fma_f64 v[10:11], s[20:21], v[4:5], v[10:11]
	v_mul_f64 v[4:5], s[22:23], v[4:5]
	v_fma_f64 v[6:7], s[20:21], v[6:7], -v[4:5]
	flat_load_dwordx4 v[2:5], v[2:3]
	s_waitcnt vmcnt(0) lgkmcnt(0)
	v_mul_f64 v[12:13], v[4:5], v[6:7]
	v_mul_f64 v[4:5], v[4:5], v[10:11]
	v_fma_f64 v[12:13], v[2:3], v[10:11], v[12:13]
	v_fma_f64 v[4:5], v[2:3], v[6:7], -v[4:5]
	v_mov_b32_e32 v2, s14
	v_add_co_u32_e32 v6, vcc, s12, v0
	v_addc_co_u32_e32 v7, vcc, v2, v1, vcc
	flat_load_dwordx4 v[0:3], v[6:7] offset:1024
	v_add_f64 v[10:11], v[16:17], v[12:13]
	v_add_f64 v[4:5], v[8:9], v[4:5]
	s_waitcnt vmcnt(0) lgkmcnt(0)
	v_add_f64 v[0:1], v[0:1], v[10:11]
	v_add_f64 v[2:3], v[2:3], v[4:5]
	flat_store_dwordx4 v[6:7], v[0:3] offset:1024
.LBB6_23:
	s_endpgm
.LBB6_24:
	v_cmp_eq_u32_e32 vcc, v7, v6
	v_cmp_gt_i32_e64 s[0:1], s13, v7
	s_and_b64 s[6:7], vcc, s[0:1]
	s_and_saveexec_b64 s[0:1], s[6:7]
	s_cbranch_execz .LBB6_26
; %bb.25:
	flat_load_dwordx4 v[8:11], v[2:3]
	v_mov_b32_e32 v6, s14
	s_waitcnt vmcnt(0) lgkmcnt(0)
	v_mul_f64 v[12:13], s[20:21], v[10:11]
	v_fma_f64 v[16:17], s[22:23], v[8:9], v[12:13]
	v_mul_f64 v[12:13], s[22:23], v[10:11]
	v_fma_f64 v[18:19], s[20:21], v[8:9], -v[12:13]
	flat_load_dwordx4 v[12:15], v[4:5]
	s_waitcnt vmcnt(0) lgkmcnt(0)
	v_mul_f64 v[20:21], v[14:15], v[16:17]
	v_fma_f64 v[20:21], v[12:13], v[18:19], v[20:21]
	v_mul_f64 v[18:19], v[14:15], v[18:19]
	v_fma_f64 v[16:17], v[12:13], v[16:17], -v[18:19]
	v_mul_f64 v[18:19], s[22:23], v[12:13]
	v_fma_f64 v[18:19], s[20:21], v[14:15], -v[18:19]
	v_mul_f64 v[14:15], s[22:23], v[14:15]
	v_fma_f64 v[12:13], s[20:21], v[12:13], v[14:15]
	v_mul_f64 v[14:15], v[10:11], v[18:19]
	v_mul_f64 v[10:11], v[10:11], v[12:13]
	v_fma_f64 v[14:15], v[8:9], v[12:13], v[14:15]
	v_fma_f64 v[10:11], v[8:9], v[18:19], -v[10:11]
	v_lshlrev_b64 v[8:9], 4, v[0:1]
	v_add_co_u32_e32 v12, vcc, s12, v8
	v_addc_co_u32_e32 v13, vcc, v6, v9, vcc
	flat_load_dwordx2 v[8:9], v[12:13] offset:1024
	v_add_f64 v[10:11], v[16:17], v[10:11]
	s_waitcnt vmcnt(0) lgkmcnt(0)
	v_add_f64 v[8:9], v[8:9], v[20:21]
	v_add_f64 v[8:9], v[8:9], v[14:15]
	flat_store_dwordx4 v[12:13], v[8:11] offset:1024
.LBB6_26:
	s_or_b64 exec, exec, s[0:1]
	s_andn2_b64 s[2:3], s[2:3], exec
	s_or_b64 exec, exec, s[4:5]
	s_and_saveexec_b64 s[0:1], s[2:3]
	s_cbranch_execnz .LBB6_22
	s_branch .LBB6_23
	.section	.rodata,"a",@progbits
	.p2align	6, 0x0
	.amdhsa_kernel _ZL19rocblas_hpr2_kernelILi64ELi16ELi2EPK19rocblas_complex_numIdEPKS3_PKPS1_EvbiT2_T3_lllSA_lllT4_lli
		.amdhsa_group_segment_fixed_size 0
		.amdhsa_private_segment_fixed_size 0
		.amdhsa_kernarg_size 108
		.amdhsa_user_sgpr_count 6
		.amdhsa_user_sgpr_private_segment_buffer 1
		.amdhsa_user_sgpr_dispatch_ptr 0
		.amdhsa_user_sgpr_queue_ptr 0
		.amdhsa_user_sgpr_kernarg_segment_ptr 1
		.amdhsa_user_sgpr_dispatch_id 0
		.amdhsa_user_sgpr_flat_scratch_init 0
		.amdhsa_user_sgpr_private_segment_size 0
		.amdhsa_uses_dynamic_stack 0
		.amdhsa_system_sgpr_private_segment_wavefront_offset 0
		.amdhsa_system_sgpr_workgroup_id_x 1
		.amdhsa_system_sgpr_workgroup_id_y 1
		.amdhsa_system_sgpr_workgroup_id_z 1
		.amdhsa_system_sgpr_workgroup_info 0
		.amdhsa_system_vgpr_workitem_id 1
		.amdhsa_next_free_vgpr 22
		.amdhsa_next_free_sgpr 32
		.amdhsa_reserve_vcc 1
		.amdhsa_reserve_flat_scratch 0
		.amdhsa_float_round_mode_32 0
		.amdhsa_float_round_mode_16_64 0
		.amdhsa_float_denorm_mode_32 3
		.amdhsa_float_denorm_mode_16_64 3
		.amdhsa_dx10_clamp 1
		.amdhsa_ieee_mode 1
		.amdhsa_fp16_overflow 0
		.amdhsa_exception_fp_ieee_invalid_op 0
		.amdhsa_exception_fp_denorm_src 0
		.amdhsa_exception_fp_ieee_div_zero 0
		.amdhsa_exception_fp_ieee_overflow 0
		.amdhsa_exception_fp_ieee_underflow 0
		.amdhsa_exception_fp_ieee_inexact 0
		.amdhsa_exception_int_div_zero 0
	.end_amdhsa_kernel
	.section	.text._ZL19rocblas_hpr2_kernelILi64ELi16ELi2EPK19rocblas_complex_numIdEPKS3_PKPS1_EvbiT2_T3_lllSA_lllT4_lli,"axG",@progbits,_ZL19rocblas_hpr2_kernelILi64ELi16ELi2EPK19rocblas_complex_numIdEPKS3_PKPS1_EvbiT2_T3_lllSA_lllT4_lli,comdat
.Lfunc_end6:
	.size	_ZL19rocblas_hpr2_kernelILi64ELi16ELi2EPK19rocblas_complex_numIdEPKS3_PKPS1_EvbiT2_T3_lllSA_lllT4_lli, .Lfunc_end6-_ZL19rocblas_hpr2_kernelILi64ELi16ELi2EPK19rocblas_complex_numIdEPKS3_PKPS1_EvbiT2_T3_lllSA_lllT4_lli
                                        ; -- End function
	.set _ZL19rocblas_hpr2_kernelILi64ELi16ELi2EPK19rocblas_complex_numIdEPKS3_PKPS1_EvbiT2_T3_lllSA_lllT4_lli.num_vgpr, 22
	.set _ZL19rocblas_hpr2_kernelILi64ELi16ELi2EPK19rocblas_complex_numIdEPKS3_PKPS1_EvbiT2_T3_lllSA_lllT4_lli.num_agpr, 0
	.set _ZL19rocblas_hpr2_kernelILi64ELi16ELi2EPK19rocblas_complex_numIdEPKS3_PKPS1_EvbiT2_T3_lllSA_lllT4_lli.numbered_sgpr, 32
	.set _ZL19rocblas_hpr2_kernelILi64ELi16ELi2EPK19rocblas_complex_numIdEPKS3_PKPS1_EvbiT2_T3_lllSA_lllT4_lli.num_named_barrier, 0
	.set _ZL19rocblas_hpr2_kernelILi64ELi16ELi2EPK19rocblas_complex_numIdEPKS3_PKPS1_EvbiT2_T3_lllSA_lllT4_lli.private_seg_size, 0
	.set _ZL19rocblas_hpr2_kernelILi64ELi16ELi2EPK19rocblas_complex_numIdEPKS3_PKPS1_EvbiT2_T3_lllSA_lllT4_lli.uses_vcc, 1
	.set _ZL19rocblas_hpr2_kernelILi64ELi16ELi2EPK19rocblas_complex_numIdEPKS3_PKPS1_EvbiT2_T3_lllSA_lllT4_lli.uses_flat_scratch, 0
	.set _ZL19rocblas_hpr2_kernelILi64ELi16ELi2EPK19rocblas_complex_numIdEPKS3_PKPS1_EvbiT2_T3_lllSA_lllT4_lli.has_dyn_sized_stack, 0
	.set _ZL19rocblas_hpr2_kernelILi64ELi16ELi2EPK19rocblas_complex_numIdEPKS3_PKPS1_EvbiT2_T3_lllSA_lllT4_lli.has_recursion, 0
	.set _ZL19rocblas_hpr2_kernelILi64ELi16ELi2EPK19rocblas_complex_numIdEPKS3_PKPS1_EvbiT2_T3_lllSA_lllT4_lli.has_indirect_call, 0
	.section	.AMDGPU.csdata,"",@progbits
; Kernel info:
; codeLenInByte = 2048
; TotalNumSgprs: 36
; NumVgprs: 22
; ScratchSize: 0
; MemoryBound: 0
; FloatMode: 240
; IeeeMode: 1
; LDSByteSize: 0 bytes/workgroup (compile time only)
; SGPRBlocks: 4
; VGPRBlocks: 5
; NumSGPRsForWavesPerEU: 36
; NumVGPRsForWavesPerEU: 22
; Occupancy: 10
; WaveLimiterHint : 1
; COMPUTE_PGM_RSRC2:SCRATCH_EN: 0
; COMPUTE_PGM_RSRC2:USER_SGPR: 6
; COMPUTE_PGM_RSRC2:TRAP_HANDLER: 0
; COMPUTE_PGM_RSRC2:TGID_X_EN: 1
; COMPUTE_PGM_RSRC2:TGID_Y_EN: 1
; COMPUTE_PGM_RSRC2:TGID_Z_EN: 1
; COMPUTE_PGM_RSRC2:TIDIG_COMP_CNT: 1
	.section	.text._ZL19rocblas_hpr2_kernelILi64ELi16ELi2E19rocblas_complex_numIdEPKPKS1_PKPS1_EvbiT2_T3_lllSA_lllT4_lli,"axG",@progbits,_ZL19rocblas_hpr2_kernelILi64ELi16ELi2E19rocblas_complex_numIdEPKPKS1_PKPS1_EvbiT2_T3_lllSA_lllT4_lli,comdat
	.globl	_ZL19rocblas_hpr2_kernelILi64ELi16ELi2E19rocblas_complex_numIdEPKPKS1_PKPS1_EvbiT2_T3_lllSA_lllT4_lli ; -- Begin function _ZL19rocblas_hpr2_kernelILi64ELi16ELi2E19rocblas_complex_numIdEPKPKS1_PKPS1_EvbiT2_T3_lllSA_lllT4_lli
	.p2align	8
	.type	_ZL19rocblas_hpr2_kernelILi64ELi16ELi2E19rocblas_complex_numIdEPKPKS1_PKPS1_EvbiT2_T3_lllSA_lllT4_lli,@function
_ZL19rocblas_hpr2_kernelILi64ELi16ELi2E19rocblas_complex_numIdEPKPKS1_PKPS1_EvbiT2_T3_lllSA_lllT4_lli: ; @_ZL19rocblas_hpr2_kernelILi64ELi16ELi2E19rocblas_complex_numIdEPKPKS1_PKPS1_EvbiT2_T3_lllSA_lllT4_lli
; %bb.0:
	s_load_dwordx8 s[12:19], s[4:5], 0x8
	s_waitcnt lgkmcnt(0)
	v_cmp_neq_f64_e64 s[0:1], s[12:13], 0
	v_cmp_neq_f64_e64 s[2:3], s[14:15], 0
	s_or_b64 s[0:1], s[0:1], s[2:3]
	s_andn2_b64 vcc, exec, s[0:1]
	s_cbranch_vccnz .LBB7_23
; %bb.1:
	s_load_dwordx2 s[26:27], s[4:5], 0x0
	s_load_dwordx2 s[24:25], s[4:5], 0x28
	s_load_dwordx4 s[0:3], s[4:5], 0x38
	s_load_dwordx2 s[10:11], s[4:5], 0x48
	s_mov_b32 s9, 0
	s_mov_b64 s[30:31], -1
	s_waitcnt lgkmcnt(0)
	s_bitcmp1_b32 s26, 0
	s_cselect_b64 s[20:21], -1, 0
	s_xor_b64 s[28:29], s[20:21], -1
	s_load_dwordx4 s[20:23], s[4:5], 0x58
	s_lshl_b64 s[8:9], s[8:9], 3
	s_add_u32 s4, s16, s8
	s_addc_u32 s5, s17, s9
	s_add_u32 s0, s0, s8
	s_addc_u32 s1, s1, s9
	s_waitcnt lgkmcnt(0)
	s_add_u32 s8, s20, s8
	s_addc_u32 s9, s21, s9
	s_load_dwordx2 s[4:5], s[4:5], 0x0
	v_lshl_add_u32 v7, s6, 7, v0
	s_load_dwordx2 s[0:1], s[0:1], 0x0
	v_lshl_add_u32 v6, s7, 4, v1
	s_load_dwordx2 s[8:9], s[8:9], 0x0
	s_and_b64 vcc, exec, s[28:29]
                                        ; implicit-def: $vgpr0
	s_cbranch_vccz .LBB7_3
; %bb.2:
	s_lshl_b32 s6, s27, 1
	v_sub_u32_e32 v0, s6, v6
	v_mad_u64_u32 v[0:1], s[6:7], v6, v0, v[6:7]
	v_sub_u32_e32 v1, v7, v6
	s_mov_b64 s[30:31], 0
	v_lshrrev_b32_e32 v2, 31, v0
	v_add_u32_e32 v0, v0, v2
	v_ashrrev_i32_e32 v0, 1, v0
	v_add_u32_e32 v0, v1, v0
.LBB7_3:
	s_andn2_b64 vcc, exec, s[30:31]
	s_cbranch_vccnz .LBB7_5
; %bb.4:
	v_mad_u64_u32 v[0:1], s[6:7], v6, v6, v[6:7]
	v_lshrrev_b32_e32 v1, 31, v0
	v_add_u32_e32 v0, v0, v1
	v_ashrrev_i32_e32 v0, 1, v0
	v_add_u32_e32 v0, v0, v7
.LBB7_5:
	s_lshl_b64 s[6:7], s[18:19], 4
	s_waitcnt lgkmcnt(0)
	s_add_u32 s18, s4, s6
	s_addc_u32 s19, s5, s7
	s_lshl_b64 s[2:3], s[2:3], 4
	s_add_u32 s16, s0, s2
	v_ashrrev_i32_e32 v3, 31, v6
	s_addc_u32 s17, s1, s3
	v_mul_lo_u32 v4, s11, v6
	v_mul_lo_u32 v5, s10, v3
	v_mad_u64_u32 v[1:2], s[2:3], s10, v6, 0
	v_mul_lo_u32 v11, s25, v6
	v_mul_lo_u32 v3, s24, v3
	v_mad_u64_u32 v[9:10], s[2:3], s24, v6, 0
	s_lshl_b64 s[0:1], s[22:23], 4
	v_add3_u32 v2, v2, v5, v4
	v_add3_u32 v10, v10, v3, v11
	s_add_u32 s8, s8, s0
	v_lshlrev_b64 v[4:5], 4, v[1:2]
	v_lshlrev_b64 v[2:3], 4, v[9:10]
	s_addc_u32 s9, s9, s1
	v_cmp_gt_i32_e64 s[0:1], s27, v6
	v_mov_b32_e32 v8, s17
	v_mov_b32_e32 v1, s19
	s_and_b64 vcc, exec, s[28:29]
	s_cbranch_vccz .LBB7_7
; %bb.6:
	v_cmp_le_i32_e32 vcc, s27, v7
	v_cmp_le_i32_e64 s[2:3], v7, v6
	s_or_b64 s[6:7], s[2:3], vcc
	s_mov_b64 s[2:3], 0
	s_mov_b64 s[4:5], -1
	s_and_b64 s[6:7], s[6:7], exec
	s_branch .LBB7_8
.LBB7_7:
	s_mov_b64 s[2:3], -1
	s_mov_b64 s[6:7], 0
	s_mov_b64 s[4:5], 0
.LBB7_8:
	v_add_co_u32_e32 v4, vcc, s16, v4
	v_addc_co_u32_e32 v5, vcc, v8, v5, vcc
	s_andn2_b64 vcc, exec, s[2:3]
	v_add_co_u32_e64 v2, s[2:3], s18, v2
	v_addc_co_u32_e64 v3, s[2:3], v1, v3, s[2:3]
	s_cbranch_vccz .LBB7_14
; %bb.9:
	s_and_saveexec_b64 s[2:3], s[6:7]
	s_xor_b64 s[6:7], exec, s[2:3]
	s_cbranch_execnz .LBB7_15
.LBB7_10:
	s_or_b64 exec, exec, s[6:7]
	v_ashrrev_i32_e32 v1, 31, v0
	s_and_saveexec_b64 s[2:3], s[4:5]
	s_cbranch_execz .LBB7_12
.LBB7_11:
	v_ashrrev_i32_e32 v18, 31, v7
	v_mul_lo_u32 v10, s25, v7
	v_mad_u64_u32 v[8:9], s[4:5], s24, v7, 0
	v_mul_lo_u32 v11, s24, v18
	v_add3_u32 v9, v9, v11, v10
	v_lshlrev_b64 v[8:9], 4, v[8:9]
	v_mov_b32_e32 v10, s19
	v_add_co_u32_e32 v8, vcc, s18, v8
	v_addc_co_u32_e32 v9, vcc, v10, v9, vcc
	flat_load_dwordx4 v[8:11], v[8:9]
	s_waitcnt vmcnt(0) lgkmcnt(0)
	v_mul_f64 v[12:13], s[14:15], v[10:11]
	v_mul_f64 v[10:11], s[12:13], v[10:11]
	v_fma_f64 v[12:13], s[12:13], v[8:9], -v[12:13]
	v_fma_f64 v[14:15], s[14:15], v[8:9], v[10:11]
	flat_load_dwordx4 v[8:11], v[4:5]
	s_waitcnt vmcnt(0) lgkmcnt(0)
	v_mul_f64 v[16:17], v[10:11], v[14:15]
	v_mul_f64 v[10:11], v[10:11], v[12:13]
	v_fma_f64 v[16:17], v[8:9], v[12:13], v[16:17]
	v_fma_f64 v[12:13], v[8:9], v[14:15], -v[10:11]
	v_mul_lo_u32 v10, s11, v7
	v_mul_lo_u32 v11, s10, v18
	v_mad_u64_u32 v[8:9], s[4:5], s10, v7, 0
	v_add3_u32 v9, v9, v11, v10
	v_lshlrev_b64 v[8:9], 4, v[8:9]
	v_mov_b32_e32 v10, s17
	v_add_co_u32_e32 v8, vcc, s16, v8
	v_addc_co_u32_e32 v9, vcc, v10, v9, vcc
	flat_load_dwordx4 v[8:11], v[8:9]
	s_waitcnt vmcnt(0) lgkmcnt(0)
	v_mul_f64 v[14:15], s[14:15], v[8:9]
	v_fma_f64 v[14:15], s[12:13], v[10:11], -v[14:15]
	v_mul_f64 v[10:11], s[14:15], v[10:11]
	v_fma_f64 v[18:19], s[12:13], v[8:9], v[10:11]
	flat_load_dwordx4 v[8:11], v[2:3]
	s_waitcnt vmcnt(0) lgkmcnt(0)
	v_mul_f64 v[20:21], v[10:11], v[14:15]
	v_mul_f64 v[10:11], v[10:11], v[18:19]
	v_fma_f64 v[20:21], v[8:9], v[18:19], v[20:21]
	v_fma_f64 v[8:9], v[8:9], v[14:15], -v[10:11]
	v_lshlrev_b64 v[10:11], 4, v[0:1]
	v_mov_b32_e32 v15, s9
	v_add_co_u32_e32 v14, vcc, s8, v10
	v_addc_co_u32_e32 v15, vcc, v15, v11, vcc
	v_add_f64 v[16:17], v[16:17], v[20:21]
	v_add_f64 v[12:13], v[12:13], v[8:9]
	flat_load_dwordx4 v[8:11], v[14:15]
	s_waitcnt vmcnt(0) lgkmcnt(0)
	v_add_f64 v[8:9], v[8:9], v[16:17]
	v_add_f64 v[10:11], v[10:11], v[12:13]
	flat_store_dwordx4 v[14:15], v[8:11]
.LBB7_12:
	s_or_b64 exec, exec, s[2:3]
	v_add_u32_e32 v7, 64, v7
	s_andn2_b64 vcc, exec, s[28:29]
	v_cmp_gt_i32_e64 s[2:3], s27, v7
	s_cbranch_vccnz .LBB7_18
; %bb.13:
	v_cmp_lt_i32_e32 vcc, v6, v7
	s_and_b64 s[2:3], s[2:3], vcc
	s_xor_b64 s[6:7], s[2:3], -1
	s_and_b64 s[2:3], s[2:3], exec
	s_and_b64 s[6:7], s[6:7], exec
	s_cbranch_execz .LBB7_19
	s_branch .LBB7_20
.LBB7_14:
	v_cmp_lt_i32_e32 vcc, v7, v6
	s_and_b64 s[2:3], vcc, s[0:1]
	s_xor_b64 s[20:21], s[2:3], -1
	s_andn2_b64 s[4:5], s[4:5], exec
	s_and_b64 s[2:3], s[2:3], exec
	s_or_b64 s[4:5], s[4:5], s[2:3]
	s_andn2_b64 s[2:3], s[6:7], exec
	s_and_b64 s[6:7], s[20:21], exec
	s_or_b64 s[6:7], s[2:3], s[6:7]
	s_and_saveexec_b64 s[2:3], s[6:7]
	s_xor_b64 s[6:7], exec, s[2:3]
	s_cbranch_execz .LBB7_10
.LBB7_15:
	v_cmp_eq_u32_e32 vcc, v7, v6
	v_cmp_gt_i32_e64 s[2:3], s27, v7
	s_and_b64 s[20:21], vcc, s[2:3]
	s_and_saveexec_b64 s[2:3], s[20:21]
	s_cbranch_execz .LBB7_17
; %bb.16:
	v_ashrrev_i32_e32 v1, 31, v7
	v_mul_lo_u32 v10, s25, v7
	v_mad_u64_u32 v[8:9], s[20:21], s24, v7, 0
	v_mul_lo_u32 v11, s24, v1
	v_mul_lo_u32 v1, s10, v1
	v_add3_u32 v9, v9, v11, v10
	v_lshlrev_b64 v[8:9], 4, v[8:9]
	v_mov_b32_e32 v10, s19
	v_add_co_u32_e32 v8, vcc, s18, v8
	v_addc_co_u32_e32 v9, vcc, v10, v9, vcc
	flat_load_dwordx4 v[8:11], v[8:9]
	s_waitcnt vmcnt(0) lgkmcnt(0)
	v_mul_f64 v[12:13], s[12:13], v[10:11]
	v_mul_f64 v[10:11], s[14:15], v[10:11]
	v_fma_f64 v[12:13], s[14:15], v[8:9], v[12:13]
	v_fma_f64 v[14:15], s[12:13], v[8:9], -v[10:11]
	flat_load_dwordx4 v[8:11], v[4:5]
	s_waitcnt vmcnt(0) lgkmcnt(0)
	v_mul_f64 v[16:17], v[10:11], v[12:13]
	v_mul_f64 v[10:11], v[10:11], v[14:15]
	v_fma_f64 v[16:17], v[8:9], v[14:15], v[16:17]
	v_fma_f64 v[12:13], v[8:9], v[12:13], -v[10:11]
	v_mul_lo_u32 v10, s11, v7
	v_mad_u64_u32 v[8:9], s[20:21], s10, v7, 0
	v_add3_u32 v9, v9, v1, v10
	v_lshlrev_b64 v[8:9], 4, v[8:9]
	v_mov_b32_e32 v1, s17
	v_add_co_u32_e32 v8, vcc, s16, v8
	v_addc_co_u32_e32 v9, vcc, v1, v9, vcc
	flat_load_dwordx4 v[8:11], v[8:9]
	v_ashrrev_i32_e32 v1, 31, v0
	s_waitcnt vmcnt(0) lgkmcnt(0)
	v_mul_f64 v[14:15], s[14:15], v[10:11]
	v_fma_f64 v[14:15], s[12:13], v[8:9], v[14:15]
	v_mul_f64 v[8:9], s[14:15], v[8:9]
	v_fma_f64 v[18:19], s[12:13], v[10:11], -v[8:9]
	flat_load_dwordx4 v[8:11], v[2:3]
	s_waitcnt vmcnt(0) lgkmcnt(0)
	v_mul_f64 v[20:21], v[10:11], v[18:19]
	v_mul_f64 v[10:11], v[10:11], v[14:15]
	v_fma_f64 v[20:21], v[8:9], v[14:15], v[20:21]
	v_fma_f64 v[10:11], v[8:9], v[18:19], -v[10:11]
	v_lshlrev_b64 v[8:9], 4, v[0:1]
	v_mov_b32_e32 v15, s9
	v_add_co_u32_e32 v14, vcc, s8, v8
	v_addc_co_u32_e32 v15, vcc, v15, v9, vcc
	flat_load_dwordx2 v[8:9], v[14:15]
	v_add_f64 v[10:11], v[12:13], v[10:11]
	s_waitcnt vmcnt(0) lgkmcnt(0)
	v_add_f64 v[8:9], v[8:9], v[16:17]
	v_add_f64 v[8:9], v[8:9], v[20:21]
	flat_store_dwordx4 v[14:15], v[8:11]
.LBB7_17:
	s_or_b64 exec, exec, s[2:3]
	s_andn2_b64 s[4:5], s[4:5], exec
	s_or_b64 exec, exec, s[6:7]
	v_ashrrev_i32_e32 v1, 31, v0
	s_and_saveexec_b64 s[2:3], s[4:5]
	s_cbranch_execnz .LBB7_11
	s_branch .LBB7_12
.LBB7_18:
	s_mov_b64 s[6:7], 0
	s_mov_b64 s[2:3], 0
.LBB7_19:
	v_cmp_ge_i32_e32 vcc, v7, v6
	s_xor_b64 s[0:1], s[0:1], -1
	s_or_b64 s[0:1], s[0:1], vcc
	s_andn2_b64 s[4:5], s[6:7], exec
	s_and_b64 s[0:1], s[0:1], exec
	s_or_b64 s[2:3], s[2:3], exec
	s_or_b64 s[6:7], s[4:5], s[0:1]
.LBB7_20:
	s_and_saveexec_b64 s[4:5], s[6:7]
	s_cbranch_execnz .LBB7_24
; %bb.21:
	s_or_b64 exec, exec, s[4:5]
	s_and_saveexec_b64 s[0:1], s[2:3]
	s_cbranch_execz .LBB7_23
.LBB7_22:
	v_ashrrev_i32_e32 v6, 31, v7
	v_mul_lo_u32 v10, s25, v7
	v_mad_u64_u32 v[8:9], s[0:1], s24, v7, 0
	v_mul_lo_u32 v11, s24, v6
	v_mul_lo_u32 v6, s10, v6
	v_lshlrev_b64 v[0:1], 4, v[0:1]
	v_add3_u32 v9, v9, v11, v10
	v_lshlrev_b64 v[8:9], 4, v[8:9]
	v_mov_b32_e32 v10, s19
	v_add_co_u32_e32 v8, vcc, s18, v8
	v_addc_co_u32_e32 v9, vcc, v10, v9, vcc
	flat_load_dwordx4 v[8:11], v[8:9]
	s_waitcnt vmcnt(0) lgkmcnt(0)
	v_mul_f64 v[12:13], s[14:15], v[10:11]
	v_mul_f64 v[10:11], s[12:13], v[10:11]
	v_fma_f64 v[12:13], s[12:13], v[8:9], -v[12:13]
	v_fma_f64 v[14:15], s[14:15], v[8:9], v[10:11]
	flat_load_dwordx4 v[8:11], v[4:5]
	s_waitcnt vmcnt(0) lgkmcnt(0)
	v_mul_f64 v[4:5], v[10:11], v[14:15]
	v_fma_f64 v[16:17], v[8:9], v[12:13], v[4:5]
	v_mul_f64 v[4:5], v[10:11], v[12:13]
	v_mul_lo_u32 v10, s11, v7
	v_fma_f64 v[8:9], v[8:9], v[14:15], -v[4:5]
	v_mad_u64_u32 v[4:5], s[0:1], s10, v7, 0
	v_mov_b32_e32 v7, s17
	v_add3_u32 v5, v5, v6, v10
	v_lshlrev_b64 v[4:5], 4, v[4:5]
	v_add_co_u32_e32 v4, vcc, s16, v4
	v_addc_co_u32_e32 v5, vcc, v7, v5, vcc
	flat_load_dwordx4 v[4:7], v[4:5]
	s_waitcnt vmcnt(0) lgkmcnt(0)
	v_mul_f64 v[10:11], s[14:15], v[6:7]
	v_fma_f64 v[10:11], s[12:13], v[4:5], v[10:11]
	v_mul_f64 v[4:5], s[14:15], v[4:5]
	v_fma_f64 v[6:7], s[12:13], v[6:7], -v[4:5]
	flat_load_dwordx4 v[2:5], v[2:3]
	s_waitcnt vmcnt(0) lgkmcnt(0)
	v_mul_f64 v[12:13], v[4:5], v[6:7]
	v_mul_f64 v[4:5], v[4:5], v[10:11]
	v_fma_f64 v[12:13], v[2:3], v[10:11], v[12:13]
	v_fma_f64 v[4:5], v[2:3], v[6:7], -v[4:5]
	v_mov_b32_e32 v2, s9
	v_add_co_u32_e32 v6, vcc, s8, v0
	v_addc_co_u32_e32 v7, vcc, v2, v1, vcc
	flat_load_dwordx4 v[0:3], v[6:7] offset:1024
	v_add_f64 v[10:11], v[16:17], v[12:13]
	v_add_f64 v[4:5], v[8:9], v[4:5]
	s_waitcnt vmcnt(0) lgkmcnt(0)
	v_add_f64 v[0:1], v[0:1], v[10:11]
	v_add_f64 v[2:3], v[2:3], v[4:5]
	flat_store_dwordx4 v[6:7], v[0:3] offset:1024
.LBB7_23:
	s_endpgm
.LBB7_24:
	v_cmp_eq_u32_e32 vcc, v7, v6
	v_cmp_gt_i32_e64 s[0:1], s27, v7
	s_and_b64 s[6:7], vcc, s[0:1]
	s_and_saveexec_b64 s[0:1], s[6:7]
	s_cbranch_execz .LBB7_26
; %bb.25:
	flat_load_dwordx4 v[8:11], v[2:3]
	v_mov_b32_e32 v6, s9
	s_waitcnt vmcnt(0) lgkmcnt(0)
	v_mul_f64 v[12:13], s[12:13], v[10:11]
	v_fma_f64 v[16:17], s[14:15], v[8:9], v[12:13]
	v_mul_f64 v[12:13], s[14:15], v[10:11]
	v_fma_f64 v[18:19], s[12:13], v[8:9], -v[12:13]
	flat_load_dwordx4 v[12:15], v[4:5]
	s_waitcnt vmcnt(0) lgkmcnt(0)
	v_mul_f64 v[20:21], v[14:15], v[16:17]
	v_fma_f64 v[20:21], v[12:13], v[18:19], v[20:21]
	v_mul_f64 v[18:19], v[14:15], v[18:19]
	v_fma_f64 v[16:17], v[12:13], v[16:17], -v[18:19]
	v_mul_f64 v[18:19], s[14:15], v[12:13]
	v_fma_f64 v[18:19], s[12:13], v[14:15], -v[18:19]
	v_mul_f64 v[14:15], s[14:15], v[14:15]
	v_fma_f64 v[12:13], s[12:13], v[12:13], v[14:15]
	v_mul_f64 v[14:15], v[10:11], v[18:19]
	v_mul_f64 v[10:11], v[10:11], v[12:13]
	v_fma_f64 v[14:15], v[8:9], v[12:13], v[14:15]
	v_fma_f64 v[10:11], v[8:9], v[18:19], -v[10:11]
	v_lshlrev_b64 v[8:9], 4, v[0:1]
	v_add_co_u32_e32 v12, vcc, s8, v8
	v_addc_co_u32_e32 v13, vcc, v6, v9, vcc
	flat_load_dwordx2 v[8:9], v[12:13] offset:1024
	v_add_f64 v[10:11], v[16:17], v[10:11]
	s_waitcnt vmcnt(0) lgkmcnt(0)
	v_add_f64 v[8:9], v[8:9], v[20:21]
	v_add_f64 v[8:9], v[8:9], v[14:15]
	flat_store_dwordx4 v[12:13], v[8:11] offset:1024
.LBB7_26:
	s_or_b64 exec, exec, s[0:1]
	s_andn2_b64 s[2:3], s[2:3], exec
	s_or_b64 exec, exec, s[4:5]
	s_and_saveexec_b64 s[0:1], s[2:3]
	s_cbranch_execnz .LBB7_22
	s_branch .LBB7_23
	.section	.rodata,"a",@progbits
	.p2align	6, 0x0
	.amdhsa_kernel _ZL19rocblas_hpr2_kernelILi64ELi16ELi2E19rocblas_complex_numIdEPKPKS1_PKPS1_EvbiT2_T3_lllSA_lllT4_lli
		.amdhsa_group_segment_fixed_size 0
		.amdhsa_private_segment_fixed_size 0
		.amdhsa_kernarg_size 116
		.amdhsa_user_sgpr_count 6
		.amdhsa_user_sgpr_private_segment_buffer 1
		.amdhsa_user_sgpr_dispatch_ptr 0
		.amdhsa_user_sgpr_queue_ptr 0
		.amdhsa_user_sgpr_kernarg_segment_ptr 1
		.amdhsa_user_sgpr_dispatch_id 0
		.amdhsa_user_sgpr_flat_scratch_init 0
		.amdhsa_user_sgpr_private_segment_size 0
		.amdhsa_uses_dynamic_stack 0
		.amdhsa_system_sgpr_private_segment_wavefront_offset 0
		.amdhsa_system_sgpr_workgroup_id_x 1
		.amdhsa_system_sgpr_workgroup_id_y 1
		.amdhsa_system_sgpr_workgroup_id_z 1
		.amdhsa_system_sgpr_workgroup_info 0
		.amdhsa_system_vgpr_workitem_id 1
		.amdhsa_next_free_vgpr 22
		.amdhsa_next_free_sgpr 32
		.amdhsa_reserve_vcc 1
		.amdhsa_reserve_flat_scratch 0
		.amdhsa_float_round_mode_32 0
		.amdhsa_float_round_mode_16_64 0
		.amdhsa_float_denorm_mode_32 3
		.amdhsa_float_denorm_mode_16_64 3
		.amdhsa_dx10_clamp 1
		.amdhsa_ieee_mode 1
		.amdhsa_fp16_overflow 0
		.amdhsa_exception_fp_ieee_invalid_op 0
		.amdhsa_exception_fp_denorm_src 0
		.amdhsa_exception_fp_ieee_div_zero 0
		.amdhsa_exception_fp_ieee_overflow 0
		.amdhsa_exception_fp_ieee_underflow 0
		.amdhsa_exception_fp_ieee_inexact 0
		.amdhsa_exception_int_div_zero 0
	.end_amdhsa_kernel
	.section	.text._ZL19rocblas_hpr2_kernelILi64ELi16ELi2E19rocblas_complex_numIdEPKPKS1_PKPS1_EvbiT2_T3_lllSA_lllT4_lli,"axG",@progbits,_ZL19rocblas_hpr2_kernelILi64ELi16ELi2E19rocblas_complex_numIdEPKPKS1_PKPS1_EvbiT2_T3_lllSA_lllT4_lli,comdat
.Lfunc_end7:
	.size	_ZL19rocblas_hpr2_kernelILi64ELi16ELi2E19rocblas_complex_numIdEPKPKS1_PKPS1_EvbiT2_T3_lllSA_lllT4_lli, .Lfunc_end7-_ZL19rocblas_hpr2_kernelILi64ELi16ELi2E19rocblas_complex_numIdEPKPKS1_PKPS1_EvbiT2_T3_lllSA_lllT4_lli
                                        ; -- End function
	.set _ZL19rocblas_hpr2_kernelILi64ELi16ELi2E19rocblas_complex_numIdEPKPKS1_PKPS1_EvbiT2_T3_lllSA_lllT4_lli.num_vgpr, 22
	.set _ZL19rocblas_hpr2_kernelILi64ELi16ELi2E19rocblas_complex_numIdEPKPKS1_PKPS1_EvbiT2_T3_lllSA_lllT4_lli.num_agpr, 0
	.set _ZL19rocblas_hpr2_kernelILi64ELi16ELi2E19rocblas_complex_numIdEPKPKS1_PKPS1_EvbiT2_T3_lllSA_lllT4_lli.numbered_sgpr, 32
	.set _ZL19rocblas_hpr2_kernelILi64ELi16ELi2E19rocblas_complex_numIdEPKPKS1_PKPS1_EvbiT2_T3_lllSA_lllT4_lli.num_named_barrier, 0
	.set _ZL19rocblas_hpr2_kernelILi64ELi16ELi2E19rocblas_complex_numIdEPKPKS1_PKPS1_EvbiT2_T3_lllSA_lllT4_lli.private_seg_size, 0
	.set _ZL19rocblas_hpr2_kernelILi64ELi16ELi2E19rocblas_complex_numIdEPKPKS1_PKPS1_EvbiT2_T3_lllSA_lllT4_lli.uses_vcc, 1
	.set _ZL19rocblas_hpr2_kernelILi64ELi16ELi2E19rocblas_complex_numIdEPKPKS1_PKPS1_EvbiT2_T3_lllSA_lllT4_lli.uses_flat_scratch, 0
	.set _ZL19rocblas_hpr2_kernelILi64ELi16ELi2E19rocblas_complex_numIdEPKPKS1_PKPS1_EvbiT2_T3_lllSA_lllT4_lli.has_dyn_sized_stack, 0
	.set _ZL19rocblas_hpr2_kernelILi64ELi16ELi2E19rocblas_complex_numIdEPKPKS1_PKPS1_EvbiT2_T3_lllSA_lllT4_lli.has_recursion, 0
	.set _ZL19rocblas_hpr2_kernelILi64ELi16ELi2E19rocblas_complex_numIdEPKPKS1_PKPS1_EvbiT2_T3_lllSA_lllT4_lli.has_indirect_call, 0
	.section	.AMDGPU.csdata,"",@progbits
; Kernel info:
; codeLenInByte = 2048
; TotalNumSgprs: 36
; NumVgprs: 22
; ScratchSize: 0
; MemoryBound: 0
; FloatMode: 240
; IeeeMode: 1
; LDSByteSize: 0 bytes/workgroup (compile time only)
; SGPRBlocks: 4
; VGPRBlocks: 5
; NumSGPRsForWavesPerEU: 36
; NumVGPRsForWavesPerEU: 22
; Occupancy: 10
; WaveLimiterHint : 1
; COMPUTE_PGM_RSRC2:SCRATCH_EN: 0
; COMPUTE_PGM_RSRC2:USER_SGPR: 6
; COMPUTE_PGM_RSRC2:TRAP_HANDLER: 0
; COMPUTE_PGM_RSRC2:TGID_X_EN: 1
; COMPUTE_PGM_RSRC2:TGID_Y_EN: 1
; COMPUTE_PGM_RSRC2:TGID_Z_EN: 1
; COMPUTE_PGM_RSRC2:TIDIG_COMP_CNT: 1
	.section	.AMDGPU.gpr_maximums,"",@progbits
	.set amdgpu.max_num_vgpr, 0
	.set amdgpu.max_num_agpr, 0
	.set amdgpu.max_num_sgpr, 0
	.section	.AMDGPU.csdata,"",@progbits
	.type	__hip_cuid_4e42573d10002ea6,@object ; @__hip_cuid_4e42573d10002ea6
	.section	.bss,"aw",@nobits
	.globl	__hip_cuid_4e42573d10002ea6
__hip_cuid_4e42573d10002ea6:
	.byte	0                               ; 0x0
	.size	__hip_cuid_4e42573d10002ea6, 1

	.ident	"AMD clang version 22.0.0git (https://github.com/RadeonOpenCompute/llvm-project roc-7.2.4 26084 f58b06dce1f9c15707c5f808fd002e18c2accf7e)"
	.section	".note.GNU-stack","",@progbits
	.addrsig
	.addrsig_sym __hip_cuid_4e42573d10002ea6
	.amdgpu_metadata
---
amdhsa.kernels:
  - .args:
      - .offset:         0
        .size:           1
        .value_kind:     by_value
      - .offset:         4
        .size:           4
        .value_kind:     by_value
      - .address_space:  global
        .offset:         8
        .size:           8
        .value_kind:     global_buffer
      - .address_space:  global
        .offset:         16
        .size:           8
        .value_kind:     global_buffer
      - .offset:         24
        .size:           8
        .value_kind:     by_value
      - .offset:         32
        .size:           8
        .value_kind:     by_value
      - .offset:         40
        .size:           8
        .value_kind:     by_value
      - .address_space:  global
        .offset:         48
        .size:           8
        .value_kind:     global_buffer
      - .offset:         56
        .size:           8
        .value_kind:     by_value
      - .offset:         64
        .size:           8
        .value_kind:     by_value
      - .offset:         72
        .size:           8
        .value_kind:     by_value
      - .address_space:  global
        .offset:         80
        .size:           8
        .value_kind:     global_buffer
      - .offset:         88
        .size:           8
        .value_kind:     by_value
      - .offset:         96
        .size:           8
        .value_kind:     by_value
      - .offset:         104
        .size:           4
        .value_kind:     by_value
    .group_segment_fixed_size: 0
    .kernarg_segment_align: 8
    .kernarg_segment_size: 108
    .language:       OpenCL C
    .language_version:
      - 2
      - 0
    .max_flat_workgroup_size: 1024
    .name:           _ZL19rocblas_hpr2_kernelILi64ELi16ELi2EPK19rocblas_complex_numIfES3_PS1_EvbiT2_T3_lllS6_lllT4_lli
    .private_segment_fixed_size: 0
    .sgpr_count:     48
    .sgpr_spill_count: 0
    .symbol:         _ZL19rocblas_hpr2_kernelILi64ELi16ELi2EPK19rocblas_complex_numIfES3_PS1_EvbiT2_T3_lllS6_lllT4_lli.kd
    .uniform_work_group_size: 1
    .uses_dynamic_stack: false
    .vgpr_count:     21
    .vgpr_spill_count: 0
    .wavefront_size: 64
  - .args:
      - .offset:         0
        .size:           1
        .value_kind:     by_value
      - .offset:         4
        .size:           4
        .value_kind:     by_value
      - .offset:         8
        .size:           8
        .value_kind:     by_value
      - .address_space:  global
        .offset:         16
        .size:           8
        .value_kind:     global_buffer
      - .offset:         24
        .size:           8
        .value_kind:     by_value
      - .offset:         32
        .size:           8
        .value_kind:     by_value
      - .offset:         40
        .size:           8
        .value_kind:     by_value
      - .address_space:  global
        .offset:         48
        .size:           8
        .value_kind:     global_buffer
      - .offset:         56
        .size:           8
        .value_kind:     by_value
      - .offset:         64
        .size:           8
        .value_kind:     by_value
      - .offset:         72
        .size:           8
        .value_kind:     by_value
      - .address_space:  global
        .offset:         80
        .size:           8
        .value_kind:     global_buffer
      - .offset:         88
        .size:           8
        .value_kind:     by_value
      - .offset:         96
        .size:           8
        .value_kind:     by_value
      - .offset:         104
        .size:           4
        .value_kind:     by_value
    .group_segment_fixed_size: 0
    .kernarg_segment_align: 8
    .kernarg_segment_size: 108
    .language:       OpenCL C
    .language_version:
      - 2
      - 0
    .max_flat_workgroup_size: 1024
    .name:           _ZL19rocblas_hpr2_kernelILi64ELi16ELi2E19rocblas_complex_numIfEPKS1_PS1_EvbiT2_T3_lllS6_lllT4_lli
    .private_segment_fixed_size: 0
    .sgpr_count:     36
    .sgpr_spill_count: 0
    .symbol:         _ZL19rocblas_hpr2_kernelILi64ELi16ELi2E19rocblas_complex_numIfEPKS1_PS1_EvbiT2_T3_lllS6_lllT4_lli.kd
    .uniform_work_group_size: 1
    .uses_dynamic_stack: false
    .vgpr_count:     21
    .vgpr_spill_count: 0
    .wavefront_size: 64
  - .args:
      - .offset:         0
        .size:           1
        .value_kind:     by_value
      - .offset:         4
        .size:           4
        .value_kind:     by_value
      - .address_space:  global
        .offset:         8
        .size:           8
        .value_kind:     global_buffer
      - .address_space:  global
        .offset:         16
        .size:           8
        .value_kind:     global_buffer
      - .offset:         24
        .size:           8
        .value_kind:     by_value
      - .offset:         32
        .size:           8
        .value_kind:     by_value
      - .offset:         40
        .size:           8
        .value_kind:     by_value
      - .address_space:  global
        .offset:         48
        .size:           8
        .value_kind:     global_buffer
      - .offset:         56
        .size:           8
        .value_kind:     by_value
      - .offset:         64
        .size:           8
        .value_kind:     by_value
      - .offset:         72
        .size:           8
        .value_kind:     by_value
      - .address_space:  global
        .offset:         80
        .size:           8
        .value_kind:     global_buffer
      - .offset:         88
        .size:           8
        .value_kind:     by_value
      - .offset:         96
        .size:           8
        .value_kind:     by_value
      - .offset:         104
        .size:           4
        .value_kind:     by_value
    .group_segment_fixed_size: 0
    .kernarg_segment_align: 8
    .kernarg_segment_size: 108
    .language:       OpenCL C
    .language_version:
      - 2
      - 0
    .max_flat_workgroup_size: 1024
    .name:           _ZL19rocblas_hpr2_kernelILi64ELi16ELi2EPK19rocblas_complex_numIdES3_PS1_EvbiT2_T3_lllS6_lllT4_lli
    .private_segment_fixed_size: 0
    .sgpr_count:     48
    .sgpr_spill_count: 0
    .symbol:         _ZL19rocblas_hpr2_kernelILi64ELi16ELi2EPK19rocblas_complex_numIdES3_PS1_EvbiT2_T3_lllS6_lllT4_lli.kd
    .uniform_work_group_size: 1
    .uses_dynamic_stack: false
    .vgpr_count:     22
    .vgpr_spill_count: 0
    .wavefront_size: 64
  - .args:
      - .offset:         0
        .size:           1
        .value_kind:     by_value
      - .offset:         4
        .size:           4
        .value_kind:     by_value
      - .offset:         8
        .size:           16
        .value_kind:     by_value
      - .address_space:  global
        .offset:         24
        .size:           8
        .value_kind:     global_buffer
      - .offset:         32
        .size:           8
        .value_kind:     by_value
      - .offset:         40
        .size:           8
        .value_kind:     by_value
      - .offset:         48
        .size:           8
        .value_kind:     by_value
      - .address_space:  global
        .offset:         56
        .size:           8
        .value_kind:     global_buffer
      - .offset:         64
        .size:           8
        .value_kind:     by_value
      - .offset:         72
        .size:           8
        .value_kind:     by_value
      - .offset:         80
        .size:           8
        .value_kind:     by_value
      - .address_space:  global
        .offset:         88
        .size:           8
        .value_kind:     global_buffer
      - .offset:         96
        .size:           8
        .value_kind:     by_value
      - .offset:         104
        .size:           8
        .value_kind:     by_value
      - .offset:         112
        .size:           4
        .value_kind:     by_value
    .group_segment_fixed_size: 0
    .kernarg_segment_align: 8
    .kernarg_segment_size: 116
    .language:       OpenCL C
    .language_version:
      - 2
      - 0
    .max_flat_workgroup_size: 1024
    .name:           _ZL19rocblas_hpr2_kernelILi64ELi16ELi2E19rocblas_complex_numIdEPKS1_PS1_EvbiT2_T3_lllS6_lllT4_lli
    .private_segment_fixed_size: 0
    .sgpr_count:     48
    .sgpr_spill_count: 0
    .symbol:         _ZL19rocblas_hpr2_kernelILi64ELi16ELi2E19rocblas_complex_numIdEPKS1_PS1_EvbiT2_T3_lllS6_lllT4_lli.kd
    .uniform_work_group_size: 1
    .uses_dynamic_stack: false
    .vgpr_count:     22
    .vgpr_spill_count: 0
    .wavefront_size: 64
  - .args:
      - .offset:         0
        .size:           1
        .value_kind:     by_value
      - .offset:         4
        .size:           4
        .value_kind:     by_value
      - .address_space:  global
        .offset:         8
        .size:           8
        .value_kind:     global_buffer
      - .address_space:  global
        .offset:         16
        .size:           8
        .value_kind:     global_buffer
      - .offset:         24
        .size:           8
        .value_kind:     by_value
      - .offset:         32
        .size:           8
        .value_kind:     by_value
      - .offset:         40
        .size:           8
        .value_kind:     by_value
      - .address_space:  global
        .offset:         48
        .size:           8
        .value_kind:     global_buffer
      - .offset:         56
        .size:           8
        .value_kind:     by_value
      - .offset:         64
        .size:           8
        .value_kind:     by_value
      - .offset:         72
        .size:           8
        .value_kind:     by_value
      - .address_space:  global
        .offset:         80
        .size:           8
        .value_kind:     global_buffer
      - .offset:         88
        .size:           8
        .value_kind:     by_value
      - .offset:         96
        .size:           8
        .value_kind:     by_value
      - .offset:         104
        .size:           4
        .value_kind:     by_value
    .group_segment_fixed_size: 0
    .kernarg_segment_align: 8
    .kernarg_segment_size: 108
    .language:       OpenCL C
    .language_version:
      - 2
      - 0
    .max_flat_workgroup_size: 1024
    .name:           _ZL19rocblas_hpr2_kernelILi64ELi16ELi2EPK19rocblas_complex_numIfEPKS3_PKPS1_EvbiT2_T3_lllSA_lllT4_lli
    .private_segment_fixed_size: 0
    .sgpr_count:     34
    .sgpr_spill_count: 0
    .symbol:         _ZL19rocblas_hpr2_kernelILi64ELi16ELi2EPK19rocblas_complex_numIfEPKS3_PKPS1_EvbiT2_T3_lllSA_lllT4_lli.kd
    .uniform_work_group_size: 1
    .uses_dynamic_stack: false
    .vgpr_count:     21
    .vgpr_spill_count: 0
    .wavefront_size: 64
  - .args:
      - .offset:         0
        .size:           1
        .value_kind:     by_value
      - .offset:         4
        .size:           4
        .value_kind:     by_value
      - .offset:         8
        .size:           8
        .value_kind:     by_value
      - .address_space:  global
        .offset:         16
        .size:           8
        .value_kind:     global_buffer
      - .offset:         24
        .size:           8
        .value_kind:     by_value
      - .offset:         32
        .size:           8
        .value_kind:     by_value
      - .offset:         40
        .size:           8
        .value_kind:     by_value
      - .address_space:  global
        .offset:         48
        .size:           8
        .value_kind:     global_buffer
      - .offset:         56
        .size:           8
        .value_kind:     by_value
      - .offset:         64
        .size:           8
        .value_kind:     by_value
      - .offset:         72
        .size:           8
        .value_kind:     by_value
      - .address_space:  global
        .offset:         80
        .size:           8
        .value_kind:     global_buffer
      - .offset:         88
        .size:           8
        .value_kind:     by_value
      - .offset:         96
        .size:           8
        .value_kind:     by_value
      - .offset:         104
        .size:           4
        .value_kind:     by_value
    .group_segment_fixed_size: 0
    .kernarg_segment_align: 8
    .kernarg_segment_size: 108
    .language:       OpenCL C
    .language_version:
      - 2
      - 0
    .max_flat_workgroup_size: 1024
    .name:           _ZL19rocblas_hpr2_kernelILi64ELi16ELi2E19rocblas_complex_numIfEPKPKS1_PKPS1_EvbiT2_T3_lllSA_lllT4_lli
    .private_segment_fixed_size: 0
    .sgpr_count:     36
    .sgpr_spill_count: 0
    .symbol:         _ZL19rocblas_hpr2_kernelILi64ELi16ELi2E19rocblas_complex_numIfEPKPKS1_PKPS1_EvbiT2_T3_lllSA_lllT4_lli.kd
    .uniform_work_group_size: 1
    .uses_dynamic_stack: false
    .vgpr_count:     21
    .vgpr_spill_count: 0
    .wavefront_size: 64
  - .args:
      - .offset:         0
        .size:           1
        .value_kind:     by_value
      - .offset:         4
        .size:           4
        .value_kind:     by_value
      - .address_space:  global
        .offset:         8
        .size:           8
        .value_kind:     global_buffer
      - .address_space:  global
        .offset:         16
        .size:           8
        .value_kind:     global_buffer
      - .offset:         24
        .size:           8
        .value_kind:     by_value
      - .offset:         32
        .size:           8
        .value_kind:     by_value
      - .offset:         40
        .size:           8
        .value_kind:     by_value
      - .address_space:  global
        .offset:         48
        .size:           8
        .value_kind:     global_buffer
      - .offset:         56
        .size:           8
        .value_kind:     by_value
      - .offset:         64
        .size:           8
        .value_kind:     by_value
      - .offset:         72
        .size:           8
        .value_kind:     by_value
      - .address_space:  global
        .offset:         80
        .size:           8
        .value_kind:     global_buffer
      - .offset:         88
        .size:           8
        .value_kind:     by_value
      - .offset:         96
        .size:           8
        .value_kind:     by_value
      - .offset:         104
        .size:           4
        .value_kind:     by_value
    .group_segment_fixed_size: 0
    .kernarg_segment_align: 8
    .kernarg_segment_size: 108
    .language:       OpenCL C
    .language_version:
      - 2
      - 0
    .max_flat_workgroup_size: 1024
    .name:           _ZL19rocblas_hpr2_kernelILi64ELi16ELi2EPK19rocblas_complex_numIdEPKS3_PKPS1_EvbiT2_T3_lllSA_lllT4_lli
    .private_segment_fixed_size: 0
    .sgpr_count:     36
    .sgpr_spill_count: 0
    .symbol:         _ZL19rocblas_hpr2_kernelILi64ELi16ELi2EPK19rocblas_complex_numIdEPKS3_PKPS1_EvbiT2_T3_lllSA_lllT4_lli.kd
    .uniform_work_group_size: 1
    .uses_dynamic_stack: false
    .vgpr_count:     22
    .vgpr_spill_count: 0
    .wavefront_size: 64
  - .args:
      - .offset:         0
        .size:           1
        .value_kind:     by_value
      - .offset:         4
        .size:           4
        .value_kind:     by_value
      - .offset:         8
        .size:           16
        .value_kind:     by_value
      - .address_space:  global
        .offset:         24
        .size:           8
        .value_kind:     global_buffer
      - .offset:         32
        .size:           8
        .value_kind:     by_value
      - .offset:         40
        .size:           8
        .value_kind:     by_value
      - .offset:         48
        .size:           8
        .value_kind:     by_value
      - .address_space:  global
        .offset:         56
        .size:           8
        .value_kind:     global_buffer
      - .offset:         64
        .size:           8
        .value_kind:     by_value
      - .offset:         72
        .size:           8
        .value_kind:     by_value
      - .offset:         80
        .size:           8
        .value_kind:     by_value
      - .address_space:  global
        .offset:         88
        .size:           8
        .value_kind:     global_buffer
      - .offset:         96
        .size:           8
        .value_kind:     by_value
      - .offset:         104
        .size:           8
        .value_kind:     by_value
      - .offset:         112
        .size:           4
        .value_kind:     by_value
    .group_segment_fixed_size: 0
    .kernarg_segment_align: 8
    .kernarg_segment_size: 116
    .language:       OpenCL C
    .language_version:
      - 2
      - 0
    .max_flat_workgroup_size: 1024
    .name:           _ZL19rocblas_hpr2_kernelILi64ELi16ELi2E19rocblas_complex_numIdEPKPKS1_PKPS1_EvbiT2_T3_lllSA_lllT4_lli
    .private_segment_fixed_size: 0
    .sgpr_count:     36
    .sgpr_spill_count: 0
    .symbol:         _ZL19rocblas_hpr2_kernelILi64ELi16ELi2E19rocblas_complex_numIdEPKPKS1_PKPS1_EvbiT2_T3_lllSA_lllT4_lli.kd
    .uniform_work_group_size: 1
    .uses_dynamic_stack: false
    .vgpr_count:     22
    .vgpr_spill_count: 0
    .wavefront_size: 64
amdhsa.target:   amdgcn-amd-amdhsa--gfx906
amdhsa.version:
  - 1
  - 2
...

	.end_amdgpu_metadata
